;; amdgpu-corpus repo=pytorch/pytorch kind=compiled arch=gfx1250 opt=O3
	.amdgcn_target "amdgcn-amd-amdhsa--gfx1250"
	.amdhsa_code_object_version 6
	.section	.text._ZN2at6native12_GLOBAL__N_125multi_tensor_apply_kernelINS1_18TensorListMetadataILi4EEENS1_20TernaryOpListFunctorIdLi4ELi3ELi3EEEJNS0_11LerpFunctorIdEEEEEvT_T0_DpT1_,"axG",@progbits,_ZN2at6native12_GLOBAL__N_125multi_tensor_apply_kernelINS1_18TensorListMetadataILi4EEENS1_20TernaryOpListFunctorIdLi4ELi3ELi3EEEJNS0_11LerpFunctorIdEEEEEvT_T0_DpT1_,comdat
	.globl	_ZN2at6native12_GLOBAL__N_125multi_tensor_apply_kernelINS1_18TensorListMetadataILi4EEENS1_20TernaryOpListFunctorIdLi4ELi3ELi3EEEJNS0_11LerpFunctorIdEEEEEvT_T0_DpT1_ ; -- Begin function _ZN2at6native12_GLOBAL__N_125multi_tensor_apply_kernelINS1_18TensorListMetadataILi4EEENS1_20TernaryOpListFunctorIdLi4ELi3ELi3EEEJNS0_11LerpFunctorIdEEEEEvT_T0_DpT1_
	.p2align	8
	.type	_ZN2at6native12_GLOBAL__N_125multi_tensor_apply_kernelINS1_18TensorListMetadataILi4EEENS1_20TernaryOpListFunctorIdLi4ELi3ELi3EEEJNS0_11LerpFunctorIdEEEEEvT_T0_DpT1_,@function
_ZN2at6native12_GLOBAL__N_125multi_tensor_apply_kernelINS1_18TensorListMetadataILi4EEENS1_20TernaryOpListFunctorIdLi4ELi3ELi3EEEJNS0_11LerpFunctorIdEEEEEvT_T0_DpT1_: ; @_ZN2at6native12_GLOBAL__N_125multi_tensor_apply_kernelINS1_18TensorListMetadataILi4EEENS1_20TernaryOpListFunctorIdLi4ELi3ELi3EEEJNS0_11LerpFunctorIdEEEEEvT_T0_DpT1_
; %bb.0:
	s_bfe_u32 s2, ttmp6, 0x4000c
	s_and_b32 s3, ttmp6, 15
	s_add_co_i32 s2, s2, 1
	s_getreg_b32 s4, hwreg(HW_REG_IB_STS2, 6, 4)
	s_mul_i32 s2, ttmp9, s2
	s_mov_b32 s13, 0
	s_add_co_i32 s3, s3, s2
	s_cmp_eq_u32 s4, 0
	s_cselect_b32 s12, ttmp9, s3
	s_load_u8 s14, s[0:1], s12 offset:0x5a0
	s_add_nc_u64 s[2:3], s[0:1], s[12:13]
	s_mul_u64 s[4:5], s[12:13], 3
	s_delay_alu instid0(SALU_CYCLE_1)
	s_add_nc_u64 s[4:5], s[2:3], s[4:5]
	s_load_b32 s22, s[4:5], 0x6e0
	s_wait_kmcnt 0x0
	s_clause 0x4
	s_load_b64 s[2:3], s[0:1], s14 offset:0x0 scale_offset
	s_load_b64 s[6:7], s[0:1], s14 offset:0x120 scale_offset
	s_load_b64 s[8:9], s[0:1], s14 offset:0x240 scale_offset
	s_load_b64 s[10:11], s[0:1], s14 offset:0x360 scale_offset
	s_load_b64 s[24:25], s[0:1], s14 offset:0x480 scale_offset
	s_ashr_i32 s23, s22, 31
	s_delay_alu instid0(SALU_CYCLE_1)
	s_lshl_b64 s[4:5], s[22:23], 19
	s_wait_kmcnt 0x0
	s_add_nc_u64 s[16:17], s[6:7], s[4:5]
	s_add_nc_u64 s[14:15], s[2:3], s[4:5]
	s_and_b32 s12, s16, 31
	s_and_b64 s[26:27], s[14:15], 31
	s_add_nc_u64 s[18:19], s[8:9], s[4:5]
	s_cmp_lg_u64 s[12:13], 0
	s_add_nc_u64 s[20:21], s[10:11], s[4:5]
	s_cselect_b32 s28, -1, 0
	s_or_b32 s12, s20, s18
	s_delay_alu instid0(SALU_CYCLE_1) | instskip(NEXT) | instid1(SALU_CYCLE_1)
	s_and_b32 s12, s12, 31
	s_cmp_lg_u32 s12, 0
	s_cselect_b32 s29, -1, 0
	s_and_b32 s12, s24, 3
	s_lshl_b64 s[22:23], s[22:23], 16
	s_or_b64 s[12:13], s[26:27], s[12:13]
	s_or_b32 s26, s29, s28
	s_cmp_lg_u64 s[12:13], 0
	s_cselect_b32 s12, -1, 0
	s_delay_alu instid0(SALU_CYCLE_1)
	s_or_b32 s26, s26, s12
	s_sub_nc_u64 s[12:13], s[24:25], s[22:23]
	s_and_not1_b32 vcc_lo, exec_lo, s26
	s_mov_b32 s22, -1
	s_cbranch_vccz .LBB0_21
; %bb.1:
	v_min_i64 v[26:27], 0x10000, s[12:13]
	v_dual_mov_b32 v29, 0 :: v_dual_lshlrev_b32 v28, 2, v0
	s_mov_b32 s26, exec_lo
	s_delay_alu instid0(VALU_DEP_1)
	v_cmpx_lt_i64_e64 v[28:29], v[26:27]
	s_cbranch_execz .LBB0_20
; %bb.2:
	s_load_b32 s22, s[0:1], 0xbfc
	v_dual_mov_b32 v1, v29 :: v_dual_lshlrev_b32 v28, 5, v0
	s_mov_b32 s23, 0
	s_delay_alu instid0(SALU_CYCLE_1) | instskip(NEXT) | instid1(VALU_DEP_1)
	s_mov_b32 s25, s23
	v_mov_b64_e32 v[30:31], v[0:1]
	s_mov_b32 s27, s23
	s_wait_kmcnt 0x0
	s_and_b32 s22, s22, 0xffff
	s_delay_alu instid0(SALU_CYCLE_1)
	s_lshl_b32 s24, s22, 5
	s_branch .LBB0_4
.LBB0_3:                                ;   in Loop: Header=BB0_4 Depth=1
	s_or_b32 exec_lo, exec_lo, s28
	v_add_nc_u64_e32 v[30:31], s[22:23], v[30:31]
	s_add_nc_u64 s[14:15], s[14:15], s[24:25]
	s_add_nc_u64 s[18:19], s[18:19], s[24:25]
	;; [unrolled: 1-line block ×3, first 2 shown]
	s_delay_alu instid0(VALU_DEP_1) | instskip(NEXT) | instid1(VALU_DEP_1)
	v_lshlrev_b64_e32 v[10:11], 2, v[30:31]
	v_cmp_ge_i64_e32 vcc_lo, v[10:11], v[26:27]
	v_add_nc_u64_e32 v[10:11], s[20:21], v[28:29]
	s_add_nc_u64 s[20:21], s[20:21], s[24:25]
	s_clause 0x1
	global_store_b128 v[10:11], v[6:9], off
	global_store_b128 v[10:11], v[2:5], off offset:16
	s_or_b32 s27, vcc_lo, s27
	s_wait_xcnt 0x0
	s_and_not1_b32 exec_lo, exec_lo, s27
	s_cbranch_execz .LBB0_20
.LBB0_4:                                ; =>This Inner Loop Header: Depth=1
	v_add_nc_u64_e32 v[32:33], s[16:17], v[28:29]
	v_add_nc_u64_e32 v[34:35], s[18:19], v[28:29]
	;; [unrolled: 1-line block ×3, first 2 shown]
	global_load_b128 v[22:25], v[32:33], off
	global_load_b128 v[18:21], v[34:35], off
	s_clause 0x1
	global_load_b128 v[6:9], v[36:37], off
	global_load_b128 v[2:5], v[36:37], off offset:16
	global_load_b128 v[14:17], v[32:33], off offset:16
	;; [unrolled: 1-line block ×3, first 2 shown]
	s_wait_loadcnt 0x4
	v_cmp_nlt_f64_e64 s28, |v[18:19]|, 0.5
	s_wait_loadcnt 0x3
	s_wait_xcnt 0x1
	v_add_f64_e64 v[32:33], v[22:23], -v[6:7]
	s_wait_xcnt 0x0
	s_and_saveexec_b32 s29, s28
	s_delay_alu instid0(SALU_CYCLE_1)
	s_xor_b32 s28, exec_lo, s29
	s_cbranch_execz .LBB0_6
; %bb.5:                                ;   in Loop: Header=BB0_4 Depth=1
	v_add_f64_e64 v[6:7], -v[18:19], 1.0
	s_delay_alu instid0(VALU_DEP_1)
	v_fma_f64 v[6:7], -v[32:33], v[6:7], v[22:23]
                                        ; implicit-def: $vgpr32_vgpr33
.LBB0_6:                                ;   in Loop: Header=BB0_4 Depth=1
	s_and_not1_saveexec_b32 s28, s28
; %bb.7:                                ;   in Loop: Header=BB0_4 Depth=1
	s_delay_alu instid0(VALU_DEP_1)
	v_fmac_f64_e32 v[6:7], v[32:33], v[18:19]
; %bb.8:                                ;   in Loop: Header=BB0_4 Depth=1
	s_or_b32 exec_lo, exec_lo, s28
	v_cmp_nlt_f64_e64 s28, |v[20:21]|, 0.5
	v_add_f64_e64 v[18:19], v[24:25], -v[8:9]
	s_and_saveexec_b32 s29, s28
	s_delay_alu instid0(SALU_CYCLE_1)
	s_xor_b32 s28, exec_lo, s29
	s_cbranch_execz .LBB0_10
; %bb.9:                                ;   in Loop: Header=BB0_4 Depth=1
	v_add_f64_e64 v[8:9], -v[20:21], 1.0
                                        ; implicit-def: $vgpr20_vgpr21
	s_delay_alu instid0(VALU_DEP_1)
	v_fma_f64 v[8:9], -v[18:19], v[8:9], v[24:25]
                                        ; implicit-def: $vgpr18_vgpr19
.LBB0_10:                               ;   in Loop: Header=BB0_4 Depth=1
	s_and_not1_saveexec_b32 s28, s28
; %bb.11:                               ;   in Loop: Header=BB0_4 Depth=1
	s_delay_alu instid0(VALU_DEP_1)
	v_fmac_f64_e32 v[8:9], v[18:19], v[20:21]
; %bb.12:                               ;   in Loop: Header=BB0_4 Depth=1
	s_or_b32 exec_lo, exec_lo, s28
	s_wait_loadcnt 0x0
	v_cmp_nlt_f64_e64 s28, |v[10:11]|, 0.5
	v_add_f64_e64 v[18:19], v[14:15], -v[2:3]
	s_and_saveexec_b32 s29, s28
	s_delay_alu instid0(SALU_CYCLE_1)
	s_xor_b32 s28, exec_lo, s29
	s_cbranch_execz .LBB0_14
; %bb.13:                               ;   in Loop: Header=BB0_4 Depth=1
	v_add_f64_e64 v[2:3], -v[10:11], 1.0
	s_delay_alu instid0(VALU_DEP_1)
	v_fma_f64 v[2:3], -v[18:19], v[2:3], v[14:15]
                                        ; implicit-def: $vgpr18_vgpr19
.LBB0_14:                               ;   in Loop: Header=BB0_4 Depth=1
	s_and_not1_saveexec_b32 s28, s28
; %bb.15:                               ;   in Loop: Header=BB0_4 Depth=1
	s_delay_alu instid0(VALU_DEP_1)
	v_fmac_f64_e32 v[2:3], v[18:19], v[10:11]
; %bb.16:                               ;   in Loop: Header=BB0_4 Depth=1
	s_or_b32 exec_lo, exec_lo, s28
	v_cmp_nlt_f64_e64 s28, |v[12:13]|, 0.5
	v_add_f64_e64 v[10:11], v[16:17], -v[4:5]
	s_and_saveexec_b32 s29, s28
	s_delay_alu instid0(SALU_CYCLE_1)
	s_xor_b32 s28, exec_lo, s29
	s_cbranch_execz .LBB0_18
; %bb.17:                               ;   in Loop: Header=BB0_4 Depth=1
	v_add_f64_e64 v[4:5], -v[12:13], 1.0
                                        ; implicit-def: $vgpr12_vgpr13
	s_delay_alu instid0(VALU_DEP_1)
	v_fma_f64 v[4:5], -v[10:11], v[4:5], v[16:17]
                                        ; implicit-def: $vgpr10_vgpr11
.LBB0_18:                               ;   in Loop: Header=BB0_4 Depth=1
	s_and_not1_saveexec_b32 s28, s28
	s_cbranch_execz .LBB0_3
; %bb.19:                               ;   in Loop: Header=BB0_4 Depth=1
	s_delay_alu instid0(VALU_DEP_1)
	v_fmac_f64_e32 v[4:5], v[10:11], v[12:13]
	s_branch .LBB0_3
.LBB0_20:
	s_or_b32 exec_lo, exec_lo, s26
	s_mov_b32 s22, 0
.LBB0_21:
	s_delay_alu instid0(SALU_CYCLE_1)
	s_and_not1_b32 vcc_lo, exec_lo, s22
	s_cbranch_vccnz .LBB0_65
; %bb.22:
	v_cmp_lt_i64_e64 s14, s[12:13], 1
	s_and_b32 vcc_lo, exec_lo, s14
	s_cbranch_vccnz .LBB0_65
; %bb.23:
	s_load_b32 s0, s[0:1], 0xbfc
	v_min_i64 v[2:3], 0x10000, s[12:13]
	v_min_u64 v[4:5], 0x10000, s[12:13]
	v_dual_mov_b32 v1, 0 :: v_dual_lshlrev_b32 v14, 3, v0
	s_wait_xcnt 0x0
	s_mov_b32 s1, 0
	s_delay_alu instid0(SALU_CYCLE_1) | instskip(NEXT) | instid1(VALU_DEP_1)
	s_mov_b32 s17, s1
	v_dual_mov_b32 v15, v1 :: v_dual_mov_b32 v43, v1
	s_mov_b32 s13, s1
	s_mov_b32 s15, s1
	s_delay_alu instid0(VALU_DEP_1) | instskip(SKIP_4) | instid1(SALU_CYCLE_1)
	v_add_nc_u64_e32 v[6:7], s[2:3], v[14:15]
	v_add_nc_u64_e32 v[8:9], s[6:7], v[14:15]
	;; [unrolled: 1-line block ×3, first 2 shown]
	s_wait_kmcnt 0x0
	s_and_b32 s0, s0, 0xffff
	v_add_nc_u64_e32 v[12:13], s[0:1], v[0:1]
	v_mad_nc_u64_u32 v[34:35], s0, 24, v[14:15]
	s_lshl_b32 s16, s0, 4
	s_mul_i32 s14, s0, 3
	v_add_nc_u64_e32 v[26:27], s[16:17], v[14:15]
	s_lshl_b32 s12, s0, 1
	v_add_nc_u64_e32 v[14:15], s[10:11], v[14:15]
	v_lshlrev_b32_e32 v42, 3, v12
	v_add_nc_u64_e32 v[16:17], s[14:15], v[0:1]
	v_add_nc_u64_e32 v[18:19], s[12:13], v[0:1]
	;; [unrolled: 1-line block ×14, first 2 shown]
	s_lshl_b32 s6, s0, 2
	s_mov_b32 s7, s1
	s_lshl_b32 s8, s0, 5
	s_mov_b32 s9, s1
	s_mov_b64 s[10:11], 0
	s_branch .LBB0_25
.LBB0_24:                               ;   in Loop: Header=BB0_25 Depth=1
	s_wait_xcnt 0x0
	s_or_b32 exec_lo, exec_lo, s0
	s_add_nc_u64 s[10:11], s[10:11], s[6:7]
	v_add_nc_u64_e32 v[6:7], s[8:9], v[6:7]
	v_cmp_ge_i64_e32 vcc_lo, s[10:11], v[2:3]
	v_add_nc_u64_e32 v[8:9], s[8:9], v[8:9]
	v_add_nc_u64_e32 v[10:11], s[8:9], v[10:11]
	;; [unrolled: 1-line block ×15, first 2 shown]
	s_cbranch_vccnz .LBB0_65
.LBB0_25:                               ; =>This Inner Loop Header: Depth=1
	v_add_nc_u64_e32 v[44:45], s[10:11], v[0:1]
	v_mov_b64_e32 v[52:53], 0
	v_mov_b64_e32 v[62:63], 0
	s_delay_alu instid0(VALU_DEP_3)
	v_cmp_lt_u64_e32 vcc_lo, v[44:45], v[4:5]
	v_mov_b64_e32 v[44:45], 0
	s_and_saveexec_b32 s0, vcc_lo
	s_cbranch_execz .LBB0_27
; %bb.26:                               ;   in Loop: Header=BB0_25 Depth=1
	v_add_nc_u64_e32 v[46:47], s[4:5], v[6:7]
	v_add_nc_u64_e32 v[48:49], s[4:5], v[8:9]
	global_load_b64 v[44:45], v[46:47], off
	global_load_b64 v[62:63], v[48:49], off
.LBB0_27:                               ;   in Loop: Header=BB0_25 Depth=1
	s_wait_xcnt 0x0
	s_or_b32 exec_lo, exec_lo, s0
	s_and_saveexec_b32 s0, vcc_lo
	s_cbranch_execz .LBB0_29
; %bb.28:                               ;   in Loop: Header=BB0_25 Depth=1
	v_add_nc_u64_e32 v[46:47], s[4:5], v[10:11]
	global_load_b64 v[52:53], v[46:47], off
.LBB0_29:                               ;   in Loop: Header=BB0_25 Depth=1
	s_wait_xcnt 0x0
	s_or_b32 exec_lo, exec_lo, s0
	v_add_nc_u64_e32 v[46:47], s[10:11], v[12:13]
	v_mov_b64_e32 v[54:55], 0
	v_mov_b64_e32 v[60:61], 0
	s_delay_alu instid0(VALU_DEP_3)
	v_cmp_lt_u64_e64 s0, v[46:47], v[4:5]
	v_mov_b64_e32 v[46:47], 0
	s_and_saveexec_b32 s1, s0
	s_cbranch_execz .LBB0_31
; %bb.30:                               ;   in Loop: Header=BB0_25 Depth=1
	v_add_nc_u64_e32 v[48:49], s[4:5], v[36:37]
	v_add_nc_u64_e32 v[50:51], s[4:5], v[38:39]
	global_load_b64 v[46:47], v[48:49], off
	global_load_b64 v[60:61], v[50:51], off
.LBB0_31:                               ;   in Loop: Header=BB0_25 Depth=1
	s_wait_xcnt 0x0
	s_or_b32 exec_lo, exec_lo, s1
	s_and_saveexec_b32 s1, s0
	s_cbranch_execz .LBB0_33
; %bb.32:                               ;   in Loop: Header=BB0_25 Depth=1
	v_add_nc_u64_e32 v[48:49], s[4:5], v[40:41]
	global_load_b64 v[54:55], v[48:49], off
.LBB0_33:                               ;   in Loop: Header=BB0_25 Depth=1
	s_wait_xcnt 0x0
	s_or_b32 exec_lo, exec_lo, s1
	v_add_nc_u64_e32 v[48:49], s[10:11], v[18:19]
	v_mov_b64_e32 v[56:57], 0
	v_mov_b64_e32 v[64:65], 0
	s_delay_alu instid0(VALU_DEP_3)
	v_cmp_lt_u64_e64 s1, v[48:49], v[4:5]
	v_mov_b64_e32 v[48:49], 0
	s_and_saveexec_b32 s2, s1
	s_cbranch_execz .LBB0_35
; %bb.34:                               ;   in Loop: Header=BB0_25 Depth=1
	v_add_nc_u64_e32 v[50:51], s[4:5], v[20:21]
	v_add_nc_u64_e32 v[58:59], s[4:5], v[22:23]
	global_load_b64 v[48:49], v[50:51], off
	global_load_b64 v[64:65], v[58:59], off
.LBB0_35:                               ;   in Loop: Header=BB0_25 Depth=1
	s_wait_xcnt 0x0
	s_or_b32 exec_lo, exec_lo, s2
	s_and_saveexec_b32 s2, s1
	;; [unrolled: 24-line block ×3, first 2 shown]
	s_cbranch_execz .LBB0_41
; %bb.40:                               ;   in Loop: Header=BB0_25 Depth=1
	v_add_nc_u64_e32 v[58:59], s[4:5], v[32:33]
	global_load_b64 v[58:59], v[58:59], off
.LBB0_41:                               ;   in Loop: Header=BB0_25 Depth=1
	s_wait_xcnt 0x0
	s_or_b32 exec_lo, exec_lo, s3
	s_wait_loadcnt 0x0
	v_cmp_nlt_f64_e64 s3, |v[52:53]|, 0.5
	v_add_f64_e64 v[68:69], v[62:63], -v[44:45]
	s_and_saveexec_b32 s12, s3
	s_delay_alu instid0(SALU_CYCLE_1)
	s_xor_b32 s3, exec_lo, s12
	s_cbranch_execz .LBB0_43
; %bb.42:                               ;   in Loop: Header=BB0_25 Depth=1
	v_add_f64_e64 v[44:45], -v[52:53], 1.0
                                        ; implicit-def: $vgpr52_vgpr53
	s_delay_alu instid0(VALU_DEP_1)
	v_fma_f64 v[44:45], -v[68:69], v[44:45], v[62:63]
                                        ; implicit-def: $vgpr68_vgpr69
.LBB0_43:                               ;   in Loop: Header=BB0_25 Depth=1
	s_and_not1_saveexec_b32 s3, s3
; %bb.44:                               ;   in Loop: Header=BB0_25 Depth=1
	s_delay_alu instid0(VALU_DEP_1)
	v_fmac_f64_e32 v[44:45], v[68:69], v[52:53]
; %bb.45:                               ;   in Loop: Header=BB0_25 Depth=1
	s_or_b32 exec_lo, exec_lo, s3
	v_cmp_nlt_f64_e64 s3, |v[54:55]|, 0.5
	v_add_f64_e64 v[52:53], v[60:61], -v[46:47]
	s_and_saveexec_b32 s12, s3
	s_delay_alu instid0(SALU_CYCLE_1)
	s_xor_b32 s3, exec_lo, s12
	s_cbranch_execz .LBB0_47
; %bb.46:                               ;   in Loop: Header=BB0_25 Depth=1
	v_add_f64_e64 v[46:47], -v[54:55], 1.0
                                        ; implicit-def: $vgpr54_vgpr55
	s_delay_alu instid0(VALU_DEP_1)
	v_fma_f64 v[46:47], -v[52:53], v[46:47], v[60:61]
                                        ; implicit-def: $vgpr52_vgpr53
.LBB0_47:                               ;   in Loop: Header=BB0_25 Depth=1
	s_and_not1_saveexec_b32 s3, s3
; %bb.48:                               ;   in Loop: Header=BB0_25 Depth=1
	s_delay_alu instid0(VALU_DEP_1)
	v_fmac_f64_e32 v[46:47], v[52:53], v[54:55]
; %bb.49:                               ;   in Loop: Header=BB0_25 Depth=1
	s_or_b32 exec_lo, exec_lo, s3
	v_cmp_nlt_f64_e64 s3, |v[56:57]|, 0.5
	v_add_f64_e64 v[52:53], v[64:65], -v[48:49]
	s_and_saveexec_b32 s12, s3
	s_delay_alu instid0(SALU_CYCLE_1)
	s_xor_b32 s3, exec_lo, s12
	s_cbranch_execz .LBB0_51
; %bb.50:                               ;   in Loop: Header=BB0_25 Depth=1
	v_add_f64_e64 v[48:49], -v[56:57], 1.0
                                        ; implicit-def: $vgpr56_vgpr57
	s_delay_alu instid0(VALU_DEP_1)
	v_fma_f64 v[48:49], -v[52:53], v[48:49], v[64:65]
                                        ; implicit-def: $vgpr52_vgpr53
.LBB0_51:                               ;   in Loop: Header=BB0_25 Depth=1
	s_and_not1_saveexec_b32 s3, s3
; %bb.52:                               ;   in Loop: Header=BB0_25 Depth=1
	s_delay_alu instid0(VALU_DEP_1)
	v_fmac_f64_e32 v[48:49], v[52:53], v[56:57]
; %bb.53:                               ;   in Loop: Header=BB0_25 Depth=1
	s_or_b32 exec_lo, exec_lo, s3
	v_cmp_nlt_f64_e64 s3, |v[58:59]|, 0.5
	v_add_f64_e64 v[52:53], v[66:67], -v[50:51]
	s_and_saveexec_b32 s12, s3
	s_delay_alu instid0(SALU_CYCLE_1)
	s_xor_b32 s3, exec_lo, s12
	s_cbranch_execnz .LBB0_59
; %bb.54:                               ;   in Loop: Header=BB0_25 Depth=1
	s_and_not1_saveexec_b32 s3, s3
	s_cbranch_execnz .LBB0_60
.LBB0_55:                               ;   in Loop: Header=BB0_25 Depth=1
	s_or_b32 exec_lo, exec_lo, s3
	s_and_saveexec_b32 s3, vcc_lo
	s_delay_alu instid0(SALU_CYCLE_1)
	s_xor_b32 s3, exec_lo, s3
	s_cbranch_execnz .LBB0_61
.LBB0_56:                               ;   in Loop: Header=BB0_25 Depth=1
	s_or_b32 exec_lo, exec_lo, s3
	s_and_saveexec_b32 s3, s0
	s_cbranch_execnz .LBB0_62
.LBB0_57:                               ;   in Loop: Header=BB0_25 Depth=1
	s_or_b32 exec_lo, exec_lo, s3
	s_and_saveexec_b32 s0, s1
	s_cbranch_execnz .LBB0_63
.LBB0_58:                               ;   in Loop: Header=BB0_25 Depth=1
	s_or_b32 exec_lo, exec_lo, s0
	s_and_saveexec_b32 s0, s2
	s_cbranch_execz .LBB0_24
	s_branch .LBB0_64
.LBB0_59:                               ;   in Loop: Header=BB0_25 Depth=1
	v_add_f64_e64 v[50:51], -v[58:59], 1.0
                                        ; implicit-def: $vgpr58_vgpr59
	s_delay_alu instid0(VALU_DEP_1)
	v_fma_f64 v[50:51], -v[52:53], v[50:51], v[66:67]
                                        ; implicit-def: $vgpr52_vgpr53
	s_and_not1_saveexec_b32 s3, s3
	s_cbranch_execz .LBB0_55
.LBB0_60:                               ;   in Loop: Header=BB0_25 Depth=1
	s_delay_alu instid0(VALU_DEP_1) | instskip(SKIP_2) | instid1(SALU_CYCLE_1)
	v_fmac_f64_e32 v[50:51], v[52:53], v[58:59]
	s_or_b32 exec_lo, exec_lo, s3
	s_and_saveexec_b32 s3, vcc_lo
	s_xor_b32 s3, exec_lo, s3
	s_cbranch_execz .LBB0_56
.LBB0_61:                               ;   in Loop: Header=BB0_25 Depth=1
	v_add_nc_u64_e32 v[52:53], s[4:5], v[14:15]
	global_store_b64 v[52:53], v[44:45], off
	s_wait_xcnt 0x0
	s_or_b32 exec_lo, exec_lo, s3
	s_and_saveexec_b32 s3, s0
	s_cbranch_execz .LBB0_57
.LBB0_62:                               ;   in Loop: Header=BB0_25 Depth=1
	v_add_nc_u64_e32 v[44:45], s[4:5], v[42:43]
	global_store_b64 v[44:45], v[46:47], off
	s_wait_xcnt 0x0
	s_or_b32 exec_lo, exec_lo, s3
	s_and_saveexec_b32 s0, s1
	s_cbranch_execz .LBB0_58
.LBB0_63:                               ;   in Loop: Header=BB0_25 Depth=1
	v_add_nc_u64_e32 v[44:45], s[4:5], v[26:27]
	global_store_b64 v[44:45], v[48:49], off
	s_wait_xcnt 0x0
	s_or_b32 exec_lo, exec_lo, s0
	s_and_saveexec_b32 s0, s2
	s_cbranch_execz .LBB0_24
.LBB0_64:                               ;   in Loop: Header=BB0_25 Depth=1
	v_add_nc_u64_e32 v[44:45], s[4:5], v[34:35]
	global_store_b64 v[44:45], v[50:51], off
	s_branch .LBB0_24
.LBB0_65:
	s_sendmsg sendmsg(MSG_DEALLOC_VGPRS)
	s_endpgm
	.section	.rodata,"a",@progbits
	.p2align	6, 0x0
	.amdhsa_kernel _ZN2at6native12_GLOBAL__N_125multi_tensor_apply_kernelINS1_18TensorListMetadataILi4EEENS1_20TernaryOpListFunctorIdLi4ELi3ELi3EEEJNS0_11LerpFunctorIdEEEEEvT_T0_DpT1_
		.amdhsa_group_segment_fixed_size 0
		.amdhsa_private_segment_fixed_size 0
		.amdhsa_kernarg_size 3312
		.amdhsa_user_sgpr_count 2
		.amdhsa_user_sgpr_dispatch_ptr 0
		.amdhsa_user_sgpr_queue_ptr 0
		.amdhsa_user_sgpr_kernarg_segment_ptr 1
		.amdhsa_user_sgpr_dispatch_id 0
		.amdhsa_user_sgpr_kernarg_preload_length 0
		.amdhsa_user_sgpr_kernarg_preload_offset 0
		.amdhsa_user_sgpr_private_segment_size 0
		.amdhsa_wavefront_size32 1
		.amdhsa_uses_dynamic_stack 0
		.amdhsa_enable_private_segment 0
		.amdhsa_system_sgpr_workgroup_id_x 1
		.amdhsa_system_sgpr_workgroup_id_y 0
		.amdhsa_system_sgpr_workgroup_id_z 0
		.amdhsa_system_sgpr_workgroup_info 0
		.amdhsa_system_vgpr_workitem_id 0
		.amdhsa_next_free_vgpr 72
		.amdhsa_next_free_sgpr 30
		.amdhsa_named_barrier_count 0
		.amdhsa_reserve_vcc 1
		.amdhsa_float_round_mode_32 0
		.amdhsa_float_round_mode_16_64 0
		.amdhsa_float_denorm_mode_32 3
		.amdhsa_float_denorm_mode_16_64 3
		.amdhsa_fp16_overflow 0
		.amdhsa_memory_ordered 1
		.amdhsa_forward_progress 1
		.amdhsa_inst_pref_size 17
		.amdhsa_round_robin_scheduling 0
		.amdhsa_exception_fp_ieee_invalid_op 0
		.amdhsa_exception_fp_denorm_src 0
		.amdhsa_exception_fp_ieee_div_zero 0
		.amdhsa_exception_fp_ieee_overflow 0
		.amdhsa_exception_fp_ieee_underflow 0
		.amdhsa_exception_fp_ieee_inexact 0
		.amdhsa_exception_int_div_zero 0
	.end_amdhsa_kernel
	.section	.text._ZN2at6native12_GLOBAL__N_125multi_tensor_apply_kernelINS1_18TensorListMetadataILi4EEENS1_20TernaryOpListFunctorIdLi4ELi3ELi3EEEJNS0_11LerpFunctorIdEEEEEvT_T0_DpT1_,"axG",@progbits,_ZN2at6native12_GLOBAL__N_125multi_tensor_apply_kernelINS1_18TensorListMetadataILi4EEENS1_20TernaryOpListFunctorIdLi4ELi3ELi3EEEJNS0_11LerpFunctorIdEEEEEvT_T0_DpT1_,comdat
.Lfunc_end0:
	.size	_ZN2at6native12_GLOBAL__N_125multi_tensor_apply_kernelINS1_18TensorListMetadataILi4EEENS1_20TernaryOpListFunctorIdLi4ELi3ELi3EEEJNS0_11LerpFunctorIdEEEEEvT_T0_DpT1_, .Lfunc_end0-_ZN2at6native12_GLOBAL__N_125multi_tensor_apply_kernelINS1_18TensorListMetadataILi4EEENS1_20TernaryOpListFunctorIdLi4ELi3ELi3EEEJNS0_11LerpFunctorIdEEEEEvT_T0_DpT1_
                                        ; -- End function
	.set _ZN2at6native12_GLOBAL__N_125multi_tensor_apply_kernelINS1_18TensorListMetadataILi4EEENS1_20TernaryOpListFunctorIdLi4ELi3ELi3EEEJNS0_11LerpFunctorIdEEEEEvT_T0_DpT1_.num_vgpr, 72
	.set _ZN2at6native12_GLOBAL__N_125multi_tensor_apply_kernelINS1_18TensorListMetadataILi4EEENS1_20TernaryOpListFunctorIdLi4ELi3ELi3EEEJNS0_11LerpFunctorIdEEEEEvT_T0_DpT1_.num_agpr, 0
	.set _ZN2at6native12_GLOBAL__N_125multi_tensor_apply_kernelINS1_18TensorListMetadataILi4EEENS1_20TernaryOpListFunctorIdLi4ELi3ELi3EEEJNS0_11LerpFunctorIdEEEEEvT_T0_DpT1_.numbered_sgpr, 30
	.set _ZN2at6native12_GLOBAL__N_125multi_tensor_apply_kernelINS1_18TensorListMetadataILi4EEENS1_20TernaryOpListFunctorIdLi4ELi3ELi3EEEJNS0_11LerpFunctorIdEEEEEvT_T0_DpT1_.num_named_barrier, 0
	.set _ZN2at6native12_GLOBAL__N_125multi_tensor_apply_kernelINS1_18TensorListMetadataILi4EEENS1_20TernaryOpListFunctorIdLi4ELi3ELi3EEEJNS0_11LerpFunctorIdEEEEEvT_T0_DpT1_.private_seg_size, 0
	.set _ZN2at6native12_GLOBAL__N_125multi_tensor_apply_kernelINS1_18TensorListMetadataILi4EEENS1_20TernaryOpListFunctorIdLi4ELi3ELi3EEEJNS0_11LerpFunctorIdEEEEEvT_T0_DpT1_.uses_vcc, 1
	.set _ZN2at6native12_GLOBAL__N_125multi_tensor_apply_kernelINS1_18TensorListMetadataILi4EEENS1_20TernaryOpListFunctorIdLi4ELi3ELi3EEEJNS0_11LerpFunctorIdEEEEEvT_T0_DpT1_.uses_flat_scratch, 0
	.set _ZN2at6native12_GLOBAL__N_125multi_tensor_apply_kernelINS1_18TensorListMetadataILi4EEENS1_20TernaryOpListFunctorIdLi4ELi3ELi3EEEJNS0_11LerpFunctorIdEEEEEvT_T0_DpT1_.has_dyn_sized_stack, 0
	.set _ZN2at6native12_GLOBAL__N_125multi_tensor_apply_kernelINS1_18TensorListMetadataILi4EEENS1_20TernaryOpListFunctorIdLi4ELi3ELi3EEEJNS0_11LerpFunctorIdEEEEEvT_T0_DpT1_.has_recursion, 0
	.set _ZN2at6native12_GLOBAL__N_125multi_tensor_apply_kernelINS1_18TensorListMetadataILi4EEENS1_20TernaryOpListFunctorIdLi4ELi3ELi3EEEJNS0_11LerpFunctorIdEEEEEvT_T0_DpT1_.has_indirect_call, 0
	.section	.AMDGPU.csdata,"",@progbits
; Kernel info:
; codeLenInByte = 2056
; TotalNumSgprs: 32
; NumVgprs: 72
; ScratchSize: 0
; MemoryBound: 1
; FloatMode: 240
; IeeeMode: 1
; LDSByteSize: 0 bytes/workgroup (compile time only)
; SGPRBlocks: 0
; VGPRBlocks: 4
; NumSGPRsForWavesPerEU: 32
; NumVGPRsForWavesPerEU: 72
; NamedBarCnt: 0
; Occupancy: 12
; WaveLimiterHint : 0
; COMPUTE_PGM_RSRC2:SCRATCH_EN: 0
; COMPUTE_PGM_RSRC2:USER_SGPR: 2
; COMPUTE_PGM_RSRC2:TRAP_HANDLER: 0
; COMPUTE_PGM_RSRC2:TGID_X_EN: 1
; COMPUTE_PGM_RSRC2:TGID_Y_EN: 0
; COMPUTE_PGM_RSRC2:TGID_Z_EN: 0
; COMPUTE_PGM_RSRC2:TIDIG_COMP_CNT: 0
	.section	.text._ZN2at6native12_GLOBAL__N_125multi_tensor_apply_kernelINS1_18TensorListMetadataILi4EEENS1_20TernaryOpListFunctorIfLi4ELi3ELi3EEEJNS0_11LerpFunctorIfEEEEEvT_T0_DpT1_,"axG",@progbits,_ZN2at6native12_GLOBAL__N_125multi_tensor_apply_kernelINS1_18TensorListMetadataILi4EEENS1_20TernaryOpListFunctorIfLi4ELi3ELi3EEEJNS0_11LerpFunctorIfEEEEEvT_T0_DpT1_,comdat
	.globl	_ZN2at6native12_GLOBAL__N_125multi_tensor_apply_kernelINS1_18TensorListMetadataILi4EEENS1_20TernaryOpListFunctorIfLi4ELi3ELi3EEEJNS0_11LerpFunctorIfEEEEEvT_T0_DpT1_ ; -- Begin function _ZN2at6native12_GLOBAL__N_125multi_tensor_apply_kernelINS1_18TensorListMetadataILi4EEENS1_20TernaryOpListFunctorIfLi4ELi3ELi3EEEJNS0_11LerpFunctorIfEEEEEvT_T0_DpT1_
	.p2align	8
	.type	_ZN2at6native12_GLOBAL__N_125multi_tensor_apply_kernelINS1_18TensorListMetadataILi4EEENS1_20TernaryOpListFunctorIfLi4ELi3ELi3EEEJNS0_11LerpFunctorIfEEEEEvT_T0_DpT1_,@function
_ZN2at6native12_GLOBAL__N_125multi_tensor_apply_kernelINS1_18TensorListMetadataILi4EEENS1_20TernaryOpListFunctorIfLi4ELi3ELi3EEEJNS0_11LerpFunctorIfEEEEEvT_T0_DpT1_: ; @_ZN2at6native12_GLOBAL__N_125multi_tensor_apply_kernelINS1_18TensorListMetadataILi4EEENS1_20TernaryOpListFunctorIfLi4ELi3ELi3EEEJNS0_11LerpFunctorIfEEEEEvT_T0_DpT1_
; %bb.0:
	s_bfe_u32 s2, ttmp6, 0x4000c
	s_and_b32 s3, ttmp6, 15
	s_add_co_i32 s2, s2, 1
	s_getreg_b32 s4, hwreg(HW_REG_IB_STS2, 6, 4)
	s_mul_i32 s2, ttmp9, s2
	s_delay_alu instid0(SALU_CYCLE_1)
	s_add_co_i32 s3, s3, s2
	s_cmp_eq_u32 s4, 0
	s_cselect_b32 s2, ttmp9, s3
	s_mov_b32 s3, 0
	s_load_u8 s17, s[0:1], s2 offset:0x5a0
	s_add_nc_u64 s[4:5], s[0:1], s[2:3]
	s_mul_u64 s[6:7], s[2:3], 3
	s_delay_alu instid0(SALU_CYCLE_1)
	s_add_nc_u64 s[4:5], s[4:5], s[6:7]
	s_load_b32 s16, s[4:5], 0x6e0
	s_wait_kmcnt 0x0
	s_clause 0x4
	s_load_b64 s[8:9], s[0:1], s17 offset:0x120 scale_offset
	s_load_b64 s[10:11], s[0:1], s17 offset:0x0 scale_offset
	s_load_b64 s[12:13], s[0:1], s17 offset:0x240 scale_offset
	s_load_b64 s[14:15], s[0:1], s17 offset:0x360 scale_offset
	s_load_b64 s[18:19], s[0:1], s17 offset:0x480 scale_offset
	s_wait_xcnt 0x0
	s_ashr_i32 s17, s16, 31
	s_delay_alu instid0(SALU_CYCLE_1)
	s_lshl_b64 s[6:7], s[16:17], 18
	s_wait_kmcnt 0x0
	s_add_nc_u64 s[4:5], s[8:9], s[6:7]
	s_add_nc_u64 s[20:21], s[12:13], s[6:7]
	s_and_b32 s2, s4, 15
	s_and_b64 s[4:5], s[10:11], 15
	s_cmp_lg_u64 s[2:3], 0
	s_cselect_b32 s21, -1, 0
	s_or_b32 s2, s14, s20
	s_delay_alu instid0(SALU_CYCLE_1) | instskip(NEXT) | instid1(SALU_CYCLE_1)
	s_and_b32 s2, s2, 15
	s_cmp_lg_u32 s2, 0
	s_cselect_b32 s20, -1, 0
	s_and_b32 s2, s18, 3
	s_lshl_b64 s[16:17], s[16:17], 16
	s_or_b64 s[2:3], s[4:5], s[2:3]
	s_or_b32 s4, s20, s21
	s_cmp_lg_u64 s[2:3], 0
	s_sub_nc_u64 s[16:17], s[18:19], s[16:17]
	s_cselect_b32 s2, -1, 0
	s_delay_alu instid0(SALU_CYCLE_1) | instskip(NEXT) | instid1(SALU_CYCLE_1)
	s_or_b32 s2, s4, s2
	s_and_not1_b32 vcc_lo, exec_lo, s2
	s_mov_b32 s2, -1
	s_cbranch_vccz .LBB1_5
; %bb.1:
	v_min_i64 v[2:3], 0x10000, s[16:17]
	v_dual_mov_b32 v5, 0 :: v_dual_lshlrev_b32 v4, 2, v0
	s_mov_b32 s26, exec_lo
	s_delay_alu instid0(VALU_DEP_1)
	v_cmpx_lt_i64_e64 v[4:5], v[2:3]
	s_cbranch_execz .LBB1_4
; %bb.2:
	s_load_b32 s2, s[0:1], 0xbfc
	v_dual_mov_b32 v1, v5 :: v_dual_lshlrev_b32 v4, 4, v0
	s_mov_b32 s19, 0
	s_add_nc_u64 s[20:21], s[10:11], 8
	s_add_nc_u64 s[22:23], s[8:9], 8
	s_delay_alu instid0(VALU_DEP_1)
	v_add_nc_u64_e32 v[4:5], s[6:7], v[4:5]
	v_mov_b64_e32 v[6:7], v[0:1]
	s_mov_b32 s25, s19
	s_mov_b32 s27, s19
	s_wait_kmcnt 0x0
	s_and_b32 s18, s2, 0xffff
	s_delay_alu instid0(SALU_CYCLE_1)
	s_lshl_b32 s24, s18, 4
.LBB1_3:                                ; =>This Inner Loop Header: Depth=1
	v_add_nc_u64_e32 v[20:21], s[20:21], v[4:5]
	v_add_nc_u64_e32 v[22:23], s[22:23], v[4:5]
	;; [unrolled: 1-line block ×4, first 2 shown]
	global_load_b128 v[8:11], v[20:21], off offset:-8
	global_load_b128 v[12:15], v[22:23], off offset:-8
	global_load_b128 v[16:19], v[24:25], off
	s_wait_xcnt 0x2
	v_add_nc_u64_e32 v[20:21], s[14:15], v[4:5]
	v_add_nc_u64_e32 v[4:5], s[24:25], v[4:5]
	s_wait_xcnt 0x1
	v_lshlrev_b64_e32 v[22:23], 2, v[6:7]
	s_delay_alu instid0(VALU_DEP_1)
	v_cmp_ge_i64_e32 vcc_lo, v[22:23], v[2:3]
	s_or_b32 s27, vcc_lo, s27
	s_wait_loadcnt 0x1
	v_pk_add_f32 v[22:23], v[12:13], v[8:9] neg_lo:[0,1] neg_hi:[0,1]
	s_wait_loadcnt 0x0
	s_wait_xcnt 0x0
	v_pk_add_f32 v[24:25], v[16:17], 1.0 op_sel_hi:[1,0] neg_lo:[1,0] neg_hi:[1,0]
	v_pk_add_f32 v[26:27], v[14:15], v[10:11] neg_lo:[0,1] neg_hi:[0,1]
	v_pk_add_f32 v[28:29], v[18:19], 1.0 op_sel_hi:[1,0] neg_lo:[1,0] neg_hi:[1,0]
	v_cmp_lt_f32_e64 s2, |v16|, 0.5
	v_pk_fma_f32 v[8:9], v[22:23], v[16:17], v[8:9]
	v_pk_fma_f32 v[12:13], v[22:23], v[24:25], v[12:13] neg_lo:[1,0,0] neg_hi:[1,0,0]
	v_pk_fma_f32 v[10:11], v[26:27], v[18:19], v[10:11]
	v_pk_fma_f32 v[14:15], v[26:27], v[28:29], v[14:15] neg_lo:[1,0,0] neg_hi:[1,0,0]
	v_cmp_lt_f32_e64 s3, |v18|, 0.5
	v_cmp_lt_f32_e64 s4, |v19|, 0.5
	;; [unrolled: 1-line block ×3, first 2 shown]
	s_delay_alu instid0(VALU_DEP_3) | instskip(NEXT) | instid1(VALU_DEP_2)
	v_dual_cndmask_b32 v8, v12, v8, s2 :: v_dual_cndmask_b32 v10, v14, v10, s3
	v_dual_cndmask_b32 v11, v15, v11, s4 :: v_dual_cndmask_b32 v9, v13, v9, s5
	global_store_b128 v[20:21], v[8:11], off
	s_wait_xcnt 0x0
	s_and_not1_b32 exec_lo, exec_lo, s27
	s_cbranch_execnz .LBB1_3
.LBB1_4:
	s_or_b32 exec_lo, exec_lo, s26
	s_mov_b32 s2, 0
.LBB1_5:
	s_delay_alu instid0(SALU_CYCLE_1)
	s_and_not1_b32 vcc_lo, exec_lo, s2
	s_cbranch_vccnz .LBB1_33
; %bb.6:
	v_cmp_lt_i64_e64 s2, s[16:17], 1
	s_and_b32 vcc_lo, exec_lo, s2
	s_cbranch_vccnz .LBB1_33
; %bb.7:
	s_load_b32 s0, s[0:1], 0xbfc
	v_min_i64 v[2:3], 0x10000, s[16:17]
	v_min_u64 v[4:5], 0x10000, s[16:17]
	v_dual_mov_b32 v1, 0 :: v_dual_lshlrev_b32 v16, 2, v0
	s_wait_xcnt 0x0
	s_mov_b32 s1, 0
	v_mov_b32_e32 v45, 1.0
	s_mov_b32 s5, s1
	v_dual_mov_b32 v17, v1 :: v_dual_mov_b32 v43, v1
	s_mov_b32 s3, s1
	s_mov_b32 s17, s1
	s_delay_alu instid0(VALU_DEP_1)
	v_add_nc_u64_e32 v[6:7], s[10:11], v[16:17]
	v_add_nc_u64_e32 v[8:9], s[8:9], v[16:17]
	;; [unrolled: 1-line block ×4, first 2 shown]
	s_wait_kmcnt 0x0
	s_and_b32 s0, s0, 0xffff
	s_delay_alu instid0(SALU_CYCLE_1)
	v_add_nc_u64_e32 v[14:15], s[0:1], v[0:1]
	v_mad_nc_u64_u32 v[34:35], s0, 12, v[16:17]
	s_lshl_b32 s4, s0, 3
	s_lshl_b32 s2, s0, 1
	v_add_nc_u64_e32 v[26:27], s[4:5], v[16:17]
	s_mul_i32 s16, s0, 3
	v_add_nc_u64_e32 v[18:19], s[2:3], v[0:1]
	v_lshlrev_b32_e32 v42, 2, v14
	v_add_nc_u64_e32 v[16:17], s[16:17], v[0:1]
	s_lshl_b32 s4, s0, 2
	s_delay_alu instid0(VALU_DEP_4)
	v_add_nc_u64_e32 v[20:21], s[10:11], v[26:27]
	v_add_nc_u64_e32 v[22:23], s[8:9], v[26:27]
	;; [unrolled: 1-line block ×12, first 2 shown]
	s_lshl_b32 s8, s0, 4
	s_mov_b32 s9, s1
	s_mov_b64 s[10:11], 0
	s_branch .LBB1_9
.LBB1_8:                                ;   in Loop: Header=BB1_9 Depth=1
	s_wait_xcnt 0x0
	s_or_b32 exec_lo, exec_lo, s0
	s_add_nc_u64 s[10:11], s[10:11], s[4:5]
	v_add_nc_u64_e32 v[6:7], s[8:9], v[6:7]
	v_cmp_ge_i64_e32 vcc_lo, s[10:11], v[2:3]
	v_add_nc_u64_e32 v[8:9], s[8:9], v[8:9]
	v_add_nc_u64_e32 v[10:11], s[8:9], v[10:11]
	;; [unrolled: 1-line block ×15, first 2 shown]
	s_cbranch_vccnz .LBB1_33
.LBB1_9:                                ; =>This Inner Loop Header: Depth=1
	s_wait_loadcnt 0x0
	v_add_nc_u64_e32 v[46:47], s[10:11], v[0:1]
	v_mov_b32_e32 v44, 0
	s_delay_alu instid0(VALU_DEP_2)
	v_cmp_lt_u64_e32 vcc_lo, v[46:47], v[4:5]
	v_mov_b32_e32 v46, 0
	s_and_saveexec_b32 s0, vcc_lo
	s_cbranch_execz .LBB1_11
; %bb.10:                               ;   in Loop: Header=BB1_9 Depth=1
	v_add_nc_u64_e32 v[48:49], s[6:7], v[6:7]
	v_add_nc_u64_e32 v[50:51], s[6:7], v[8:9]
	global_load_b32 v46, v[48:49], off
	global_load_b32 v44, v[50:51], off
.LBB1_11:                               ;   in Loop: Header=BB1_9 Depth=1
	s_wait_xcnt 0x0
	s_or_b32 exec_lo, exec_lo, s0
	v_dual_mov_b32 v48, 0 :: v_dual_mov_b32 v47, 0
	s_and_saveexec_b32 s0, vcc_lo
	s_cbranch_execz .LBB1_13
; %bb.12:                               ;   in Loop: Header=BB1_9 Depth=1
	v_add_nc_u64_e32 v[50:51], s[6:7], v[10:11]
	global_load_b32 v47, v[50:51], off
.LBB1_13:                               ;   in Loop: Header=BB1_9 Depth=1
	s_wait_xcnt 0x0
	s_or_b32 exec_lo, exec_lo, s0
	v_add_nc_u64_e32 v[50:51], s[10:11], v[14:15]
	v_mov_b32_e32 v49, 0
	s_delay_alu instid0(VALU_DEP_2)
	v_cmp_lt_u64_e64 s0, v[50:51], v[4:5]
	s_and_saveexec_b32 s1, s0
	s_cbranch_execz .LBB1_15
; %bb.14:                               ;   in Loop: Header=BB1_9 Depth=1
	v_add_nc_u64_e32 v[50:51], s[6:7], v[36:37]
	v_add_nc_u64_e32 v[52:53], s[6:7], v[38:39]
	global_load_b32 v49, v[50:51], off
	global_load_b32 v48, v[52:53], off
.LBB1_15:                               ;   in Loop: Header=BB1_9 Depth=1
	s_wait_xcnt 0x0
	s_or_b32 exec_lo, exec_lo, s1
	v_dual_mov_b32 v50, 0 :: v_dual_mov_b32 v52, 0
	s_and_saveexec_b32 s1, s0
	s_cbranch_execz .LBB1_17
; %bb.16:                               ;   in Loop: Header=BB1_9 Depth=1
	v_add_nc_u64_e32 v[52:53], s[6:7], v[40:41]
	global_load_b32 v52, v[52:53], off
.LBB1_17:                               ;   in Loop: Header=BB1_9 Depth=1
	s_wait_xcnt 0x0
	s_or_b32 exec_lo, exec_lo, s1
	v_add_nc_u64_e32 v[54:55], s[10:11], v[18:19]
	v_mov_b32_e32 v51, 0
	s_delay_alu instid0(VALU_DEP_2)
	v_cmp_lt_u64_e64 s1, v[54:55], v[4:5]
	s_and_saveexec_b32 s2, s1
	s_cbranch_execz .LBB1_19
; %bb.18:                               ;   in Loop: Header=BB1_9 Depth=1
	v_add_nc_u64_e32 v[54:55], s[6:7], v[20:21]
	v_add_nc_u64_e32 v[56:57], s[6:7], v[22:23]
	global_load_b32 v51, v[54:55], off
	global_load_b32 v50, v[56:57], off
.LBB1_19:                               ;   in Loop: Header=BB1_9 Depth=1
	s_wait_xcnt 0x0
	s_or_b32 exec_lo, exec_lo, s2
	v_dual_mov_b32 v53, 0 :: v_dual_mov_b32 v55, 0
	s_and_saveexec_b32 s2, s1
	s_cbranch_execz .LBB1_21
; %bb.20:                               ;   in Loop: Header=BB1_9 Depth=1
	v_add_nc_u64_e32 v[54:55], s[6:7], v[24:25]
	global_load_b32 v55, v[54:55], off
.LBB1_21:                               ;   in Loop: Header=BB1_9 Depth=1
	s_wait_xcnt 0x0
	s_or_b32 exec_lo, exec_lo, s2
	v_add_nc_u64_e32 v[56:57], s[10:11], v[16:17]
	v_mov_b32_e32 v54, 0
	s_delay_alu instid0(VALU_DEP_2)
	v_cmp_lt_u64_e64 s2, v[56:57], v[4:5]
	s_and_saveexec_b32 s3, s2
	s_cbranch_execnz .LBB1_27
; %bb.22:                               ;   in Loop: Header=BB1_9 Depth=1
	s_or_b32 exec_lo, exec_lo, s3
	v_mov_b32_e32 v56, 0
	s_and_saveexec_b32 s3, s2
	s_cbranch_execnz .LBB1_28
.LBB1_23:                               ;   in Loop: Header=BB1_9 Depth=1
	s_or_b32 exec_lo, exec_lo, s3
	s_and_saveexec_b32 s3, vcc_lo
	s_cbranch_execnz .LBB1_29
.LBB1_24:                               ;   in Loop: Header=BB1_9 Depth=1
	s_or_b32 exec_lo, exec_lo, s3
	s_and_saveexec_b32 s3, s0
	s_cbranch_execnz .LBB1_30
.LBB1_25:                               ;   in Loop: Header=BB1_9 Depth=1
	s_or_b32 exec_lo, exec_lo, s3
	s_and_saveexec_b32 s0, s1
	s_cbranch_execnz .LBB1_31
.LBB1_26:                               ;   in Loop: Header=BB1_9 Depth=1
	s_or_b32 exec_lo, exec_lo, s0
	s_and_saveexec_b32 s0, s2
	s_cbranch_execz .LBB1_8
	s_branch .LBB1_32
.LBB1_27:                               ;   in Loop: Header=BB1_9 Depth=1
	v_add_nc_u64_e32 v[56:57], s[6:7], v[28:29]
	v_add_nc_u64_e32 v[58:59], s[6:7], v[30:31]
	global_load_b32 v54, v[56:57], off
	global_load_b32 v53, v[58:59], off
	s_wait_xcnt 0x0
	s_or_b32 exec_lo, exec_lo, s3
	v_mov_b32_e32 v56, 0
	s_and_saveexec_b32 s3, s2
	s_cbranch_execz .LBB1_23
.LBB1_28:                               ;   in Loop: Header=BB1_9 Depth=1
	v_add_nc_u64_e32 v[56:57], s[6:7], v[32:33]
	global_load_b32 v56, v[56:57], off
	s_wait_xcnt 0x0
	s_or_b32 exec_lo, exec_lo, s3
	s_and_saveexec_b32 s3, vcc_lo
	s_cbranch_execz .LBB1_24
.LBB1_29:                               ;   in Loop: Header=BB1_9 Depth=1
	s_wait_loadcnt 0x0
	v_pk_add_f32 v[58:59], v[44:45], v[46:47] neg_lo:[0,1] neg_hi:[0,1]
	v_cmp_lt_f32_e64 vcc_lo, |v47|, 0.5
	s_delay_alu instid0(VALU_DEP_2) | instskip(NEXT) | instid1(VALU_DEP_3)
	v_fmac_f32_e32 v46, v58, v47
	v_fma_f32 v44, -v58, v59, v44
	v_add_nc_u64_e32 v[58:59], s[6:7], v[12:13]
	s_delay_alu instid0(VALU_DEP_2)
	v_cndmask_b32_e32 v44, v44, v46, vcc_lo
	global_store_b32 v[58:59], v44, off
	s_wait_xcnt 0x0
	s_or_b32 exec_lo, exec_lo, s3
	s_and_saveexec_b32 s3, s0
	s_cbranch_execz .LBB1_25
.LBB1_30:                               ;   in Loop: Header=BB1_9 Depth=1
	s_wait_loadcnt 0x0
	v_dual_sub_f32 v44, v48, v49 :: v_dual_sub_f32 v46, 1.0, v52
	v_cmp_lt_f32_e64 vcc_lo, |v52|, 0.5
	s_delay_alu instid0(VALU_DEP_2) | instskip(SKIP_1) | instid1(VALU_DEP_2)
	v_dual_fmac_f32 v49, v44, v52 :: v_dual_fma_f32 v44, -v44, v46, v48
	v_add_nc_u64_e32 v[46:47], s[6:7], v[42:43]
	v_cndmask_b32_e32 v44, v44, v49, vcc_lo
	global_store_b32 v[46:47], v44, off
	s_wait_xcnt 0x0
	s_or_b32 exec_lo, exec_lo, s3
	s_and_saveexec_b32 s0, s1
	s_cbranch_execz .LBB1_26
.LBB1_31:                               ;   in Loop: Header=BB1_9 Depth=1
	s_wait_loadcnt 0x0
	v_sub_f32_e32 v44, v50, v51
	v_sub_f32_e32 v46, 1.0, v55
	v_cmp_lt_f32_e64 vcc_lo, |v55|, 0.5
	s_delay_alu instid0(VALU_DEP_2) | instskip(SKIP_1) | instid1(VALU_DEP_2)
	v_dual_fmac_f32 v51, v44, v55 :: v_dual_fma_f32 v44, -v44, v46, v50
	v_add_nc_u64_e32 v[46:47], s[6:7], v[26:27]
	v_cndmask_b32_e32 v44, v44, v51, vcc_lo
	global_store_b32 v[46:47], v44, off
	s_wait_xcnt 0x0
	s_or_b32 exec_lo, exec_lo, s0
	s_and_saveexec_b32 s0, s2
	s_cbranch_execz .LBB1_8
.LBB1_32:                               ;   in Loop: Header=BB1_9 Depth=1
	s_wait_loadcnt 0x0
	v_dual_sub_f32 v44, v53, v54 :: v_dual_sub_f32 v46, 1.0, v56
	v_cmp_lt_f32_e64 vcc_lo, |v56|, 0.5
	s_delay_alu instid0(VALU_DEP_2) | instskip(SKIP_1) | instid1(VALU_DEP_2)
	v_dual_fmac_f32 v54, v44, v56 :: v_dual_fma_f32 v44, -v44, v46, v53
	v_add_nc_u64_e32 v[46:47], s[6:7], v[34:35]
	v_cndmask_b32_e32 v44, v44, v54, vcc_lo
	global_store_b32 v[46:47], v44, off
	s_branch .LBB1_8
.LBB1_33:
	s_endpgm
	.section	.rodata,"a",@progbits
	.p2align	6, 0x0
	.amdhsa_kernel _ZN2at6native12_GLOBAL__N_125multi_tensor_apply_kernelINS1_18TensorListMetadataILi4EEENS1_20TernaryOpListFunctorIfLi4ELi3ELi3EEEJNS0_11LerpFunctorIfEEEEEvT_T0_DpT1_
		.amdhsa_group_segment_fixed_size 0
		.amdhsa_private_segment_fixed_size 0
		.amdhsa_kernarg_size 3312
		.amdhsa_user_sgpr_count 2
		.amdhsa_user_sgpr_dispatch_ptr 0
		.amdhsa_user_sgpr_queue_ptr 0
		.amdhsa_user_sgpr_kernarg_segment_ptr 1
		.amdhsa_user_sgpr_dispatch_id 0
		.amdhsa_user_sgpr_kernarg_preload_length 0
		.amdhsa_user_sgpr_kernarg_preload_offset 0
		.amdhsa_user_sgpr_private_segment_size 0
		.amdhsa_wavefront_size32 1
		.amdhsa_uses_dynamic_stack 0
		.amdhsa_enable_private_segment 0
		.amdhsa_system_sgpr_workgroup_id_x 1
		.amdhsa_system_sgpr_workgroup_id_y 0
		.amdhsa_system_sgpr_workgroup_id_z 0
		.amdhsa_system_sgpr_workgroup_info 0
		.amdhsa_system_vgpr_workitem_id 0
		.amdhsa_next_free_vgpr 60
		.amdhsa_next_free_sgpr 28
		.amdhsa_named_barrier_count 0
		.amdhsa_reserve_vcc 1
		.amdhsa_float_round_mode_32 0
		.amdhsa_float_round_mode_16_64 0
		.amdhsa_float_denorm_mode_32 3
		.amdhsa_float_denorm_mode_16_64 3
		.amdhsa_fp16_overflow 0
		.amdhsa_memory_ordered 1
		.amdhsa_forward_progress 1
		.amdhsa_inst_pref_size 14
		.amdhsa_round_robin_scheduling 0
		.amdhsa_exception_fp_ieee_invalid_op 0
		.amdhsa_exception_fp_denorm_src 0
		.amdhsa_exception_fp_ieee_div_zero 0
		.amdhsa_exception_fp_ieee_overflow 0
		.amdhsa_exception_fp_ieee_underflow 0
		.amdhsa_exception_fp_ieee_inexact 0
		.amdhsa_exception_int_div_zero 0
	.end_amdhsa_kernel
	.section	.text._ZN2at6native12_GLOBAL__N_125multi_tensor_apply_kernelINS1_18TensorListMetadataILi4EEENS1_20TernaryOpListFunctorIfLi4ELi3ELi3EEEJNS0_11LerpFunctorIfEEEEEvT_T0_DpT1_,"axG",@progbits,_ZN2at6native12_GLOBAL__N_125multi_tensor_apply_kernelINS1_18TensorListMetadataILi4EEENS1_20TernaryOpListFunctorIfLi4ELi3ELi3EEEJNS0_11LerpFunctorIfEEEEEvT_T0_DpT1_,comdat
.Lfunc_end1:
	.size	_ZN2at6native12_GLOBAL__N_125multi_tensor_apply_kernelINS1_18TensorListMetadataILi4EEENS1_20TernaryOpListFunctorIfLi4ELi3ELi3EEEJNS0_11LerpFunctorIfEEEEEvT_T0_DpT1_, .Lfunc_end1-_ZN2at6native12_GLOBAL__N_125multi_tensor_apply_kernelINS1_18TensorListMetadataILi4EEENS1_20TernaryOpListFunctorIfLi4ELi3ELi3EEEJNS0_11LerpFunctorIfEEEEEvT_T0_DpT1_
                                        ; -- End function
	.set _ZN2at6native12_GLOBAL__N_125multi_tensor_apply_kernelINS1_18TensorListMetadataILi4EEENS1_20TernaryOpListFunctorIfLi4ELi3ELi3EEEJNS0_11LerpFunctorIfEEEEEvT_T0_DpT1_.num_vgpr, 60
	.set _ZN2at6native12_GLOBAL__N_125multi_tensor_apply_kernelINS1_18TensorListMetadataILi4EEENS1_20TernaryOpListFunctorIfLi4ELi3ELi3EEEJNS0_11LerpFunctorIfEEEEEvT_T0_DpT1_.num_agpr, 0
	.set _ZN2at6native12_GLOBAL__N_125multi_tensor_apply_kernelINS1_18TensorListMetadataILi4EEENS1_20TernaryOpListFunctorIfLi4ELi3ELi3EEEJNS0_11LerpFunctorIfEEEEEvT_T0_DpT1_.numbered_sgpr, 28
	.set _ZN2at6native12_GLOBAL__N_125multi_tensor_apply_kernelINS1_18TensorListMetadataILi4EEENS1_20TernaryOpListFunctorIfLi4ELi3ELi3EEEJNS0_11LerpFunctorIfEEEEEvT_T0_DpT1_.num_named_barrier, 0
	.set _ZN2at6native12_GLOBAL__N_125multi_tensor_apply_kernelINS1_18TensorListMetadataILi4EEENS1_20TernaryOpListFunctorIfLi4ELi3ELi3EEEJNS0_11LerpFunctorIfEEEEEvT_T0_DpT1_.private_seg_size, 0
	.set _ZN2at6native12_GLOBAL__N_125multi_tensor_apply_kernelINS1_18TensorListMetadataILi4EEENS1_20TernaryOpListFunctorIfLi4ELi3ELi3EEEJNS0_11LerpFunctorIfEEEEEvT_T0_DpT1_.uses_vcc, 1
	.set _ZN2at6native12_GLOBAL__N_125multi_tensor_apply_kernelINS1_18TensorListMetadataILi4EEENS1_20TernaryOpListFunctorIfLi4ELi3ELi3EEEJNS0_11LerpFunctorIfEEEEEvT_T0_DpT1_.uses_flat_scratch, 0
	.set _ZN2at6native12_GLOBAL__N_125multi_tensor_apply_kernelINS1_18TensorListMetadataILi4EEENS1_20TernaryOpListFunctorIfLi4ELi3ELi3EEEJNS0_11LerpFunctorIfEEEEEvT_T0_DpT1_.has_dyn_sized_stack, 0
	.set _ZN2at6native12_GLOBAL__N_125multi_tensor_apply_kernelINS1_18TensorListMetadataILi4EEENS1_20TernaryOpListFunctorIfLi4ELi3ELi3EEEJNS0_11LerpFunctorIfEEEEEvT_T0_DpT1_.has_recursion, 0
	.set _ZN2at6native12_GLOBAL__N_125multi_tensor_apply_kernelINS1_18TensorListMetadataILi4EEENS1_20TernaryOpListFunctorIfLi4ELi3ELi3EEEJNS0_11LerpFunctorIfEEEEEvT_T0_DpT1_.has_indirect_call, 0
	.section	.AMDGPU.csdata,"",@progbits
; Kernel info:
; codeLenInByte = 1740
; TotalNumSgprs: 30
; NumVgprs: 60
; ScratchSize: 0
; MemoryBound: 0
; FloatMode: 240
; IeeeMode: 1
; LDSByteSize: 0 bytes/workgroup (compile time only)
; SGPRBlocks: 0
; VGPRBlocks: 3
; NumSGPRsForWavesPerEU: 30
; NumVGPRsForWavesPerEU: 60
; NamedBarCnt: 0
; Occupancy: 16
; WaveLimiterHint : 0
; COMPUTE_PGM_RSRC2:SCRATCH_EN: 0
; COMPUTE_PGM_RSRC2:USER_SGPR: 2
; COMPUTE_PGM_RSRC2:TRAP_HANDLER: 0
; COMPUTE_PGM_RSRC2:TGID_X_EN: 1
; COMPUTE_PGM_RSRC2:TGID_Y_EN: 0
; COMPUTE_PGM_RSRC2:TGID_Z_EN: 0
; COMPUTE_PGM_RSRC2:TIDIG_COMP_CNT: 0
	.section	.text._ZN2at6native12_GLOBAL__N_125multi_tensor_apply_kernelINS1_18TensorListMetadataILi4EEENS1_20TernaryOpListFunctorIN3c107complexIdEELi4ELi3ELi3EEEJNS0_11LerpFunctorIS8_EEEEEvT_T0_DpT1_,"axG",@progbits,_ZN2at6native12_GLOBAL__N_125multi_tensor_apply_kernelINS1_18TensorListMetadataILi4EEENS1_20TernaryOpListFunctorIN3c107complexIdEELi4ELi3ELi3EEEJNS0_11LerpFunctorIS8_EEEEEvT_T0_DpT1_,comdat
	.globl	_ZN2at6native12_GLOBAL__N_125multi_tensor_apply_kernelINS1_18TensorListMetadataILi4EEENS1_20TernaryOpListFunctorIN3c107complexIdEELi4ELi3ELi3EEEJNS0_11LerpFunctorIS8_EEEEEvT_T0_DpT1_ ; -- Begin function _ZN2at6native12_GLOBAL__N_125multi_tensor_apply_kernelINS1_18TensorListMetadataILi4EEENS1_20TernaryOpListFunctorIN3c107complexIdEELi4ELi3ELi3EEEJNS0_11LerpFunctorIS8_EEEEEvT_T0_DpT1_
	.p2align	8
	.type	_ZN2at6native12_GLOBAL__N_125multi_tensor_apply_kernelINS1_18TensorListMetadataILi4EEENS1_20TernaryOpListFunctorIN3c107complexIdEELi4ELi3ELi3EEEJNS0_11LerpFunctorIS8_EEEEEvT_T0_DpT1_,@function
_ZN2at6native12_GLOBAL__N_125multi_tensor_apply_kernelINS1_18TensorListMetadataILi4EEENS1_20TernaryOpListFunctorIN3c107complexIdEELi4ELi3ELi3EEEJNS0_11LerpFunctorIS8_EEEEEvT_T0_DpT1_: ; @_ZN2at6native12_GLOBAL__N_125multi_tensor_apply_kernelINS1_18TensorListMetadataILi4EEENS1_20TernaryOpListFunctorIN3c107complexIdEELi4ELi3ELi3EEEJNS0_11LerpFunctorIS8_EEEEEvT_T0_DpT1_
; %bb.0:
	s_bfe_u32 s2, ttmp6, 0x4000c
	s_and_b32 s3, ttmp6, 15
	s_add_co_i32 s2, s2, 1
	s_getreg_b32 s4, hwreg(HW_REG_IB_STS2, 6, 4)
	s_mul_i32 s2, ttmp9, s2
	s_delay_alu instid0(SALU_CYCLE_1)
	s_add_co_i32 s3, s3, s2
	s_cmp_eq_u32 s4, 0
	s_cselect_b32 s2, ttmp9, s3
	s_mov_b32 s3, 0
	s_load_u8 s13, s[0:1], s2 offset:0x5a0
	s_add_nc_u64 s[4:5], s[0:1], s[2:3]
	s_mul_u64 s[6:7], s[2:3], 3
	s_delay_alu instid0(SALU_CYCLE_1)
	s_add_nc_u64 s[4:5], s[4:5], s[6:7]
	s_load_b32 s12, s[4:5], 0x6e0
	s_wait_kmcnt 0x0
	s_clause 0x4
	s_load_b64 s[6:7], s[0:1], s13 offset:0x240 scale_offset
	s_load_b64 s[8:9], s[0:1], s13 offset:0x360 scale_offset
	;; [unrolled: 1-line block ×5, first 2 shown]
	s_wait_xcnt 0x0
	s_ashr_i32 s13, s12, 31
	s_delay_alu instid0(SALU_CYCLE_1)
	s_lshl_b64 s[18:19], s[12:13], 20
	s_wait_kmcnt 0x0
	s_add_nc_u64 s[4:5], s[6:7], s[18:19]
	s_add_nc_u64 s[6:7], s[8:9], s[18:19]
	;; [unrolled: 1-line block ×3, first 2 shown]
	s_or_b32 s2, s6, s4
	s_delay_alu instid0(SALU_CYCLE_1)
	s_and_b32 s10, s2, 63
	s_and_b32 s2, s8, 63
	s_cmp_lg_u32 s10, 0
	s_add_nc_u64 s[10:11], s[14:15], s[18:19]
	s_cselect_b32 s18, -1, 0
	s_lshl_b64 s[12:13], s[12:13], 16
	s_and_b64 s[14:15], s[10:11], 63
	s_cmp_lg_u64 s[2:3], 0
	s_cselect_b32 s19, -1, 0
	s_and_b32 s2, s16, 3
	s_delay_alu instid0(SALU_CYCLE_1) | instskip(SKIP_3) | instid1(SALU_CYCLE_1)
	s_or_b64 s[2:3], s[14:15], s[2:3]
	s_or_b32 s14, s18, s19
	s_cmp_lg_u64 s[2:3], 0
	s_cselect_b32 s2, -1, 0
	s_or_b32 s14, s14, s2
	s_sub_nc_u64 s[2:3], s[16:17], s[12:13]
	s_and_not1_b32 vcc_lo, exec_lo, s14
	s_mov_b32 s12, -1
	s_cbranch_vccz .LBB2_21
; %bb.1:
	v_min_i64 v[54:55], 0x10000, s[2:3]
	v_dual_mov_b32 v57, 0 :: v_dual_lshlrev_b32 v56, 2, v0
	s_mov_b32 s24, exec_lo
	s_delay_alu instid0(VALU_DEP_1)
	v_cmpx_lt_i64_e64 v[56:57], v[54:55]
	s_cbranch_execz .LBB2_20
; %bb.2:
	s_load_b32 s12, s[0:1], 0xbfc
	v_dual_mov_b32 v1, v57 :: v_dual_lshlrev_b32 v56, 6, v0
	s_mov_b32 s13, 0
	s_mov_b64 s[14:15], s[8:9]
	s_mov_b64 s[16:17], s[4:5]
	s_delay_alu instid0(VALU_DEP_1)
	v_mov_b64_e32 v[58:59], v[0:1]
	s_mov_b64 s[18:19], s[10:11]
	s_mov_b32 s21, s13
	s_mov_b32 s25, s13
	s_mov_b64 s[22:23], s[6:7]
	s_wait_kmcnt 0x0
	s_and_b32 s12, s12, 0xffff
	s_delay_alu instid0(SALU_CYCLE_1)
	s_lshl_b32 s20, s12, 6
	s_branch .LBB2_4
.LBB2_3:                                ;   in Loop: Header=BB2_4 Depth=1
	s_or_b32 exec_lo, exec_lo, s26
	v_add_nc_u64_e32 v[58:59], s[12:13], v[58:59]
	v_add_nc_u64_e32 v[8:9], s[22:23], v[56:57]
	s_add_nc_u64 s[22:23], s[22:23], s[20:21]
	s_add_nc_u64 s[18:19], s[18:19], s[20:21]
	;; [unrolled: 1-line block ×4, first 2 shown]
	s_clause 0x1
	global_store_b128 v[8:9], v[2:5], off
	global_store_b128 v[8:9], v[18:21], off offset:16
	v_lshlrev_b64_e32 v[6:7], 2, v[58:59]
	s_clause 0x1
	global_store_b128 v[8:9], v[34:37], off offset:32
	global_store_b128 v[8:9], v[22:25], off offset:48
	v_cmp_ge_i64_e32 vcc_lo, v[6:7], v[54:55]
	s_or_b32 s25, vcc_lo, s25
	s_wait_xcnt 0x0
	s_and_not1_b32 exec_lo, exec_lo, s25
	s_cbranch_execz .LBB2_20
.LBB2_4:                                ; =>This Inner Loop Header: Depth=1
	v_add_nc_u64_e32 v[2:3], s[16:17], v[56:57]
	v_add_nc_u64_e32 v[4:5], s[18:19], v[56:57]
	;; [unrolled: 1-line block ×3, first 2 shown]
	global_load_b128 v[18:21], v[2:3], off
	global_load_b128 v[46:49], v[4:5], off
	;; [unrolled: 1-line block ×3, first 2 shown]
	global_load_b128 v[34:37], v[2:3], off offset:16
	global_load_b128 v[38:41], v[4:5], off offset:16
	global_load_b128 v[42:45], v[60:61], off offset:16
	s_clause 0x1
	global_load_b128 v[10:13], v[4:5], off offset:48
	global_load_b128 v[26:29], v[4:5], off offset:32
	s_clause 0x1
	global_load_b128 v[14:17], v[60:61], off offset:48
	global_load_b128 v[30:33], v[60:61], off offset:32
	;; [unrolled: 3-line block ×3, first 2 shown]
	s_wait_loadcnt 0x9
	v_add_f64_e64 v[62:63], v[50:51], -v[46:47]
	s_wait_xcnt 0x2
	v_add_f64_e64 v[60:61], v[52:53], -v[48:49]
	s_wait_xcnt 0x0
	v_mul_f64_e32 v[2:3], v[20:21], v[20:21]
	s_delay_alu instid0(VALU_DEP_1) | instskip(NEXT) | instid1(VALU_DEP_1)
	v_fmac_f64_e32 v[2:3], v[18:19], v[18:19]
	v_cmp_ngt_f64_e32 vcc_lo, 0x3fd00000, v[2:3]
                                        ; implicit-def: $vgpr4_vgpr5
	s_and_saveexec_b32 s26, vcc_lo
	s_delay_alu instid0(SALU_CYCLE_1)
	s_xor_b32 s26, exec_lo, s26
	s_cbranch_execz .LBB2_6
; %bb.5:                                ;   in Loop: Header=BB2_4 Depth=1
	v_add_f64_e64 v[2:3], -v[20:21], 0
	v_add_f64_e64 v[4:5], -v[18:19], 1.0
                                        ; implicit-def: $vgpr46_vgpr47
	s_delay_alu instid0(VALU_DEP_2) | instskip(SKIP_1) | instid1(VALU_DEP_2)
	v_mul_f64_e32 v[18:19], v[60:61], v[2:3]
	v_mul_f64_e32 v[20:21], v[62:63], v[2:3]
	v_fma_f64 v[2:3], v[62:63], v[4:5], -v[18:19]
	s_delay_alu instid0(VALU_DEP_2) | instskip(NEXT) | instid1(VALU_DEP_2)
	v_fmac_f64_e32 v[20:21], v[60:61], v[4:5]
                                        ; implicit-def: $vgpr60_vgpr61
                                        ; implicit-def: $vgpr62_vgpr63
	v_add_f64_e64 v[2:3], v[50:51], -v[2:3]
	s_delay_alu instid0(VALU_DEP_2)
	v_add_f64_e64 v[4:5], v[52:53], -v[20:21]
                                        ; implicit-def: $vgpr20_vgpr21
.LBB2_6:                                ;   in Loop: Header=BB2_4 Depth=1
	s_and_not1_saveexec_b32 s26, s26
	s_cbranch_execz .LBB2_8
; %bb.7:                                ;   in Loop: Header=BB2_4 Depth=1
	s_delay_alu instid0(VALU_DEP_4) | instskip(SKIP_1) | instid1(VALU_DEP_2)
	v_mul_f64_e32 v[2:3], v[60:61], v[20:21]
	v_mul_f64_e32 v[4:5], v[62:63], v[20:21]
	v_fma_f64 v[2:3], v[62:63], v[18:19], -v[2:3]
	s_delay_alu instid0(VALU_DEP_2) | instskip(NEXT) | instid1(VALU_DEP_2)
	v_fmac_f64_e32 v[4:5], v[60:61], v[18:19]
	v_add_f64_e32 v[2:3], v[46:47], v[2:3]
	s_delay_alu instid0(VALU_DEP_2)
	v_add_f64_e32 v[4:5], v[48:49], v[4:5]
.LBB2_8:                                ;   in Loop: Header=BB2_4 Depth=1
	s_or_b32 exec_lo, exec_lo, s26
	s_wait_loadcnt 0x8
	v_mul_f64_e32 v[18:19], v[36:37], v[36:37]
	s_wait_loadcnt 0x6
	v_add_f64_e64 v[48:49], v[42:43], -v[38:39]
	v_add_f64_e64 v[46:47], v[44:45], -v[40:41]
	s_delay_alu instid0(VALU_DEP_3) | instskip(NEXT) | instid1(VALU_DEP_1)
	v_fmac_f64_e32 v[18:19], v[34:35], v[34:35]
	v_cmp_ngt_f64_e32 vcc_lo, 0x3fd00000, v[18:19]
                                        ; implicit-def: $vgpr20_vgpr21
	s_and_saveexec_b32 s26, vcc_lo
	s_delay_alu instid0(SALU_CYCLE_1)
	s_xor_b32 s26, exec_lo, s26
	s_cbranch_execz .LBB2_10
; %bb.9:                                ;   in Loop: Header=BB2_4 Depth=1
	v_add_f64_e64 v[18:19], -v[36:37], 0
	v_add_f64_e64 v[20:21], -v[34:35], 1.0
                                        ; implicit-def: $vgpr38_vgpr39
	s_delay_alu instid0(VALU_DEP_2) | instskip(SKIP_1) | instid1(VALU_DEP_2)
	v_mul_f64_e32 v[34:35], v[46:47], v[18:19]
	v_mul_f64_e32 v[36:37], v[48:49], v[18:19]
	v_fma_f64 v[18:19], v[48:49], v[20:21], -v[34:35]
	s_delay_alu instid0(VALU_DEP_2) | instskip(NEXT) | instid1(VALU_DEP_2)
	v_fmac_f64_e32 v[36:37], v[46:47], v[20:21]
                                        ; implicit-def: $vgpr46_vgpr47
                                        ; implicit-def: $vgpr48_vgpr49
	v_add_f64_e64 v[18:19], v[42:43], -v[18:19]
	s_delay_alu instid0(VALU_DEP_2)
	v_add_f64_e64 v[20:21], v[44:45], -v[36:37]
                                        ; implicit-def: $vgpr36_vgpr37
.LBB2_10:                               ;   in Loop: Header=BB2_4 Depth=1
	s_and_not1_saveexec_b32 s26, s26
	s_cbranch_execz .LBB2_12
; %bb.11:                               ;   in Loop: Header=BB2_4 Depth=1
	s_delay_alu instid0(VALU_DEP_3) | instskip(SKIP_1) | instid1(VALU_DEP_2)
	v_mul_f64_e32 v[18:19], v[46:47], v[36:37]
	v_mul_f64_e32 v[20:21], v[48:49], v[36:37]
	v_fma_f64 v[18:19], v[48:49], v[34:35], -v[18:19]
	s_delay_alu instid0(VALU_DEP_2) | instskip(NEXT) | instid1(VALU_DEP_2)
	v_fmac_f64_e32 v[20:21], v[46:47], v[34:35]
	v_add_f64_e32 v[18:19], v[38:39], v[18:19]
	s_delay_alu instid0(VALU_DEP_2)
	v_add_f64_e32 v[20:21], v[40:41], v[20:21]
.LBB2_12:                               ;   in Loop: Header=BB2_4 Depth=1
	s_or_b32 exec_lo, exec_lo, s26
	s_wait_loadcnt 0x0
	v_mul_f64_e32 v[34:35], v[24:25], v[24:25]
	v_add_f64_e64 v[40:41], v[30:31], -v[26:27]
	v_add_f64_e64 v[38:39], v[32:33], -v[28:29]
	s_delay_alu instid0(VALU_DEP_3) | instskip(NEXT) | instid1(VALU_DEP_1)
	v_fmac_f64_e32 v[34:35], v[22:23], v[22:23]
	v_cmp_ngt_f64_e32 vcc_lo, 0x3fd00000, v[34:35]
                                        ; implicit-def: $vgpr36_vgpr37
	s_and_saveexec_b32 s26, vcc_lo
	s_delay_alu instid0(SALU_CYCLE_1)
	s_xor_b32 s26, exec_lo, s26
	s_cbranch_execz .LBB2_14
; %bb.13:                               ;   in Loop: Header=BB2_4 Depth=1
	v_add_f64_e64 v[24:25], -v[24:25], 0
	v_add_f64_e64 v[22:23], -v[22:23], 1.0
	s_delay_alu instid0(VALU_DEP_2) | instskip(SKIP_1) | instid1(VALU_DEP_2)
	v_mul_f64_e32 v[26:27], v[38:39], v[24:25]
	v_mul_f64_e32 v[24:25], v[40:41], v[24:25]
	v_fma_f64 v[26:27], v[40:41], v[22:23], -v[26:27]
	s_delay_alu instid0(VALU_DEP_2) | instskip(NEXT) | instid1(VALU_DEP_2)
	v_fmac_f64_e32 v[24:25], v[38:39], v[22:23]
                                        ; implicit-def: $vgpr38_vgpr39
                                        ; implicit-def: $vgpr40_vgpr41
	v_add_f64_e64 v[34:35], v[30:31], -v[26:27]
	s_delay_alu instid0(VALU_DEP_2)
	v_add_f64_e64 v[36:37], v[32:33], -v[24:25]
                                        ; implicit-def: $vgpr24_vgpr25
                                        ; implicit-def: $vgpr26_vgpr27
.LBB2_14:                               ;   in Loop: Header=BB2_4 Depth=1
	s_and_not1_saveexec_b32 s26, s26
	s_cbranch_execz .LBB2_16
; %bb.15:                               ;   in Loop: Header=BB2_4 Depth=1
	s_delay_alu instid0(VALU_DEP_3) | instskip(SKIP_1) | instid1(VALU_DEP_2)
	v_mul_f64_e32 v[30:31], v[38:39], v[24:25]
	v_mul_f64_e32 v[24:25], v[40:41], v[24:25]
	v_fma_f64 v[30:31], v[40:41], v[22:23], -v[30:31]
	s_delay_alu instid0(VALU_DEP_2) | instskip(NEXT) | instid1(VALU_DEP_2)
	v_fmac_f64_e32 v[24:25], v[38:39], v[22:23]
	v_add_f64_e32 v[34:35], v[26:27], v[30:31]
	s_delay_alu instid0(VALU_DEP_2)
	v_add_f64_e32 v[36:37], v[28:29], v[24:25]
.LBB2_16:                               ;   in Loop: Header=BB2_4 Depth=1
	s_or_b32 exec_lo, exec_lo, s26
	v_mul_f64_e32 v[22:23], v[8:9], v[8:9]
	v_add_f64_e64 v[28:29], v[14:15], -v[10:11]
	v_add_f64_e64 v[26:27], v[16:17], -v[12:13]
	s_delay_alu instid0(VALU_DEP_3) | instskip(NEXT) | instid1(VALU_DEP_1)
	v_fmac_f64_e32 v[22:23], v[6:7], v[6:7]
	v_cmp_ngt_f64_e32 vcc_lo, 0x3fd00000, v[22:23]
                                        ; implicit-def: $vgpr24_vgpr25
	s_and_saveexec_b32 s26, vcc_lo
	s_delay_alu instid0(SALU_CYCLE_1)
	s_xor_b32 s26, exec_lo, s26
	s_cbranch_execz .LBB2_18
; %bb.17:                               ;   in Loop: Header=BB2_4 Depth=1
	v_add_f64_e64 v[8:9], -v[8:9], 0
	v_add_f64_e64 v[6:7], -v[6:7], 1.0
	s_delay_alu instid0(VALU_DEP_2) | instskip(SKIP_1) | instid1(VALU_DEP_2)
	v_mul_f64_e32 v[10:11], v[26:27], v[8:9]
	v_mul_f64_e32 v[8:9], v[28:29], v[8:9]
	v_fma_f64 v[10:11], v[28:29], v[6:7], -v[10:11]
	s_delay_alu instid0(VALU_DEP_2) | instskip(NEXT) | instid1(VALU_DEP_2)
	v_fmac_f64_e32 v[8:9], v[26:27], v[6:7]
                                        ; implicit-def: $vgpr26_vgpr27
                                        ; implicit-def: $vgpr28_vgpr29
	v_add_f64_e64 v[22:23], v[14:15], -v[10:11]
	s_delay_alu instid0(VALU_DEP_2)
	v_add_f64_e64 v[24:25], v[16:17], -v[8:9]
                                        ; implicit-def: $vgpr8_vgpr9
                                        ; implicit-def: $vgpr10_vgpr11
.LBB2_18:                               ;   in Loop: Header=BB2_4 Depth=1
	s_and_not1_saveexec_b32 s26, s26
	s_cbranch_execz .LBB2_3
; %bb.19:                               ;   in Loop: Header=BB2_4 Depth=1
	s_delay_alu instid0(VALU_DEP_3) | instskip(SKIP_1) | instid1(VALU_DEP_2)
	v_mul_f64_e32 v[14:15], v[26:27], v[8:9]
	v_mul_f64_e32 v[8:9], v[28:29], v[8:9]
	v_fma_f64 v[14:15], v[28:29], v[6:7], -v[14:15]
	s_delay_alu instid0(VALU_DEP_2) | instskip(NEXT) | instid1(VALU_DEP_2)
	v_fmac_f64_e32 v[8:9], v[26:27], v[6:7]
	v_add_f64_e32 v[22:23], v[10:11], v[14:15]
	s_delay_alu instid0(VALU_DEP_2)
	v_add_f64_e32 v[24:25], v[12:13], v[8:9]
	s_branch .LBB2_3
.LBB2_20:
	s_or_b32 exec_lo, exec_lo, s24
	s_mov_b32 s12, 0
.LBB2_21:
	s_delay_alu instid0(SALU_CYCLE_1)
	s_and_not1_b32 vcc_lo, exec_lo, s12
	s_cbranch_vccnz .LBB2_65
; %bb.22:
	v_cmp_lt_i64_e64 s12, s[2:3], 1
	s_and_b32 vcc_lo, exec_lo, s12
	s_cbranch_vccnz .LBB2_65
; %bb.23:
	v_min_i64 v[54:55], 0x10000, s[2:3]
	v_min_u64 v[56:57], 0x10000, s[2:3]
	s_load_b32 s0, s[0:1], 0xbfc
	v_mov_b32_e32 v1, 0
	s_mov_b32 s13, 0
	s_mov_b64 s[20:21], 0
	s_mov_b32 s15, s13
	s_mov_b32 s17, s13
	s_mov_b32 s19, s13
	s_wait_kmcnt 0x0
	s_and_b32 s12, s0, 0xffff
	s_delay_alu instid0(SALU_CYCLE_1)
	s_lshl_b32 s14, s12, 1
	s_mul_i32 s16, s12, 3
	s_lshl_b32 s18, s12, 2
	s_branch .LBB2_25
.LBB2_24:                               ;   in Loop: Header=BB2_25 Depth=1
	s_wait_xcnt 0x0
	s_or_b32 exec_lo, exec_lo, s0
	s_add_nc_u64 s[20:21], s[20:21], s[18:19]
	s_delay_alu instid0(SALU_CYCLE_1)
	v_cmp_ge_i64_e32 vcc_lo, s[20:21], v[54:55]
	s_cbranch_vccnz .LBB2_65
.LBB2_25:                               ; =>This Inner Loop Header: Depth=1
	v_add_nc_u64_e32 v[58:59], s[20:21], v[0:1]
	v_mov_b64_e32 v[24:25], 0
	v_mov_b64_e32 v[48:49], 0
	;; [unrolled: 1-line block ×5, first 2 shown]
	v_cmp_lt_u64_e32 vcc_lo, v[58:59], v[56:57]
	s_and_saveexec_b32 s0, vcc_lo
	s_cbranch_execz .LBB2_27
; %bb.26:                               ;   in Loop: Header=BB2_25 Depth=1
	v_lshlrev_b64_e32 v[2:3], 4, v[58:59]
	s_delay_alu instid0(VALU_DEP_1)
	v_add_nc_u64_e32 v[4:5], s[10:11], v[2:3]
	v_add_nc_u64_e32 v[2:3], s[8:9], v[2:3]
	global_load_b128 v[30:33], v[4:5], off
	global_load_b128 v[46:49], v[2:3], off
.LBB2_27:                               ;   in Loop: Header=BB2_25 Depth=1
	s_wait_xcnt 0x0
	s_or_b32 exec_lo, exec_lo, s0
	v_mov_b64_e32 v[22:23], 0
	s_and_saveexec_b32 s0, vcc_lo
	s_cbranch_execz .LBB2_29
; %bb.28:                               ;   in Loop: Header=BB2_25 Depth=1
	v_lshl_add_u64 v[2:3], v[58:59], 4, s[4:5]
	global_load_b128 v[22:25], v[2:3], off
.LBB2_29:                               ;   in Loop: Header=BB2_25 Depth=1
	s_wait_xcnt 0x0
	s_or_b32 exec_lo, exec_lo, s0
	v_add_nc_u64_e32 v[60:61], s[12:13], v[58:59]
	v_mov_b64_e32 v[16:17], 0
	v_mov_b64_e32 v[44:45], 0
	v_mov_b64_e32 v[42:43], 0
	v_mov_b64_e32 v[28:29], 0
	v_mov_b64_e32 v[26:27], 0
	v_cmp_lt_u64_e64 s0, v[60:61], v[56:57]
	s_and_saveexec_b32 s1, s0
	s_cbranch_execz .LBB2_31
; %bb.30:                               ;   in Loop: Header=BB2_25 Depth=1
	v_lshlrev_b64_e32 v[2:3], 4, v[60:61]
	s_delay_alu instid0(VALU_DEP_1)
	v_add_nc_u64_e32 v[4:5], s[10:11], v[2:3]
	v_add_nc_u64_e32 v[2:3], s[8:9], v[2:3]
	global_load_b128 v[26:29], v[4:5], off
	global_load_b128 v[42:45], v[2:3], off
.LBB2_31:                               ;   in Loop: Header=BB2_25 Depth=1
	s_wait_xcnt 0x0
	s_or_b32 exec_lo, exec_lo, s1
	v_mov_b64_e32 v[14:15], 0
	s_and_saveexec_b32 s1, s0
	s_cbranch_execz .LBB2_33
; %bb.32:                               ;   in Loop: Header=BB2_25 Depth=1
	v_lshl_add_u64 v[2:3], v[60:61], 4, s[4:5]
	global_load_b128 v[14:17], v[2:3], off
.LBB2_33:                               ;   in Loop: Header=BB2_25 Depth=1
	s_wait_xcnt 0x0
	s_or_b32 exec_lo, exec_lo, s1
	v_add_nc_u64_e32 v[62:63], s[14:15], v[58:59]
	v_mov_b64_e32 v[8:9], 0
	v_mov_b64_e32 v[40:41], 0
	v_mov_b64_e32 v[38:39], 0
	v_mov_b64_e32 v[20:21], 0
	v_mov_b64_e32 v[18:19], 0
	v_cmp_lt_u64_e64 s1, v[62:63], v[56:57]
	s_and_saveexec_b32 s2, s1
	s_cbranch_execz .LBB2_35
; %bb.34:                               ;   in Loop: Header=BB2_25 Depth=1
	v_lshlrev_b64_e32 v[2:3], 4, v[62:63]
	s_delay_alu instid0(VALU_DEP_1)
	v_add_nc_u64_e32 v[4:5], s[10:11], v[2:3]
	v_add_nc_u64_e32 v[2:3], s[8:9], v[2:3]
	global_load_b128 v[18:21], v[4:5], off
	global_load_b128 v[38:41], v[2:3], off
.LBB2_35:                               ;   in Loop: Header=BB2_25 Depth=1
	s_wait_xcnt 0x0
	s_or_b32 exec_lo, exec_lo, s2
	v_mov_b64_e32 v[6:7], 0
	s_and_saveexec_b32 s2, s1
	s_cbranch_execz .LBB2_37
; %bb.36:                               ;   in Loop: Header=BB2_25 Depth=1
	v_lshl_add_u64 v[2:3], v[62:63], 4, s[4:5]
	global_load_b128 v[6:9], v[2:3], off
.LBB2_37:                               ;   in Loop: Header=BB2_25 Depth=1
	s_wait_xcnt 0x0
	s_or_b32 exec_lo, exec_lo, s2
	v_add_nc_u64_e32 v[64:65], s[16:17], v[58:59]
	v_mov_b64_e32 v[4:5], 0
	v_mov_b64_e32 v[36:37], 0
	v_mov_b64_e32 v[34:35], 0
	v_mov_b64_e32 v[12:13], 0
	v_mov_b64_e32 v[10:11], 0
	v_cmp_lt_u64_e64 s2, v[64:65], v[56:57]
	s_and_saveexec_b32 s3, s2
	s_cbranch_execz .LBB2_39
; %bb.38:                               ;   in Loop: Header=BB2_25 Depth=1
	v_lshlrev_b64_e32 v[2:3], 4, v[64:65]
	s_delay_alu instid0(VALU_DEP_1)
	v_add_nc_u64_e32 v[50:51], s[10:11], v[2:3]
	v_add_nc_u64_e32 v[2:3], s[8:9], v[2:3]
	global_load_b128 v[10:13], v[50:51], off
	global_load_b128 v[34:37], v[2:3], off
.LBB2_39:                               ;   in Loop: Header=BB2_25 Depth=1
	s_wait_xcnt 0x0
	s_or_b32 exec_lo, exec_lo, s3
	v_mov_b64_e32 v[2:3], 0
	s_and_saveexec_b32 s3, s2
	s_cbranch_execz .LBB2_41
; %bb.40:                               ;   in Loop: Header=BB2_25 Depth=1
	v_lshl_add_u64 v[2:3], v[64:65], 4, s[4:5]
	global_load_b128 v[2:5], v[2:3], off
.LBB2_41:                               ;   in Loop: Header=BB2_25 Depth=1
	s_wait_xcnt 0x0
	s_or_b32 exec_lo, exec_lo, s3
	s_wait_loadcnt 0x0
	v_mul_f64_e32 v[50:51], v[22:23], v[22:23]
	v_add_f64_e64 v[66:67], v[46:47], -v[30:31]
	v_add_f64_e64 v[68:69], v[48:49], -v[32:33]
	s_delay_alu instid0(VALU_DEP_3) | instskip(NEXT) | instid1(VALU_DEP_1)
	v_fmac_f64_e32 v[50:51], v[24:25], v[24:25]
	v_cmp_ngt_f64_e64 s3, 0x3fd00000, v[50:51]
                                        ; implicit-def: $vgpr52_vgpr53
	s_and_saveexec_b32 s22, s3
	s_delay_alu instid0(SALU_CYCLE_1)
	s_xor_b32 s3, exec_lo, s22
	s_cbranch_execz .LBB2_43
; %bb.42:                               ;   in Loop: Header=BB2_25 Depth=1
	v_add_f64_e64 v[24:25], -v[24:25], 0
	v_add_f64_e64 v[22:23], -v[22:23], 1.0
	s_delay_alu instid0(VALU_DEP_2) | instskip(NEXT) | instid1(VALU_DEP_2)
	v_mul_f64_e32 v[30:31], v[68:69], v[24:25]
	v_mul_f64_e32 v[32:33], v[68:69], v[22:23]
                                        ; implicit-def: $vgpr68_vgpr69
	s_delay_alu instid0(VALU_DEP_2) | instskip(NEXT) | instid1(VALU_DEP_2)
	v_fma_f64 v[22:23], v[66:67], v[22:23], -v[30:31]
	v_fmac_f64_e32 v[32:33], v[66:67], v[24:25]
                                        ; implicit-def: $vgpr66_vgpr67
	s_delay_alu instid0(VALU_DEP_2) | instskip(NEXT) | instid1(VALU_DEP_2)
	v_add_f64_e64 v[50:51], v[46:47], -v[22:23]
	v_add_f64_e64 v[52:53], v[48:49], -v[32:33]
                                        ; implicit-def: $vgpr24_vgpr25
                                        ; implicit-def: $vgpr30_vgpr31
.LBB2_43:                               ;   in Loop: Header=BB2_25 Depth=1
	s_and_not1_saveexec_b32 s3, s3
	s_cbranch_execz .LBB2_45
; %bb.44:                               ;   in Loop: Header=BB2_25 Depth=1
	v_mul_f64_e32 v[46:47], v[68:69], v[24:25]
	v_mul_f64_e32 v[48:49], v[68:69], v[22:23]
	s_delay_alu instid0(VALU_DEP_2) | instskip(NEXT) | instid1(VALU_DEP_2)
	v_fma_f64 v[22:23], v[66:67], v[22:23], -v[46:47]
	v_fmac_f64_e32 v[48:49], v[66:67], v[24:25]
	s_delay_alu instid0(VALU_DEP_2) | instskip(NEXT) | instid1(VALU_DEP_2)
	v_add_f64_e32 v[50:51], v[30:31], v[22:23]
	v_add_f64_e32 v[52:53], v[32:33], v[48:49]
.LBB2_45:                               ;   in Loop: Header=BB2_25 Depth=1
	s_or_b32 exec_lo, exec_lo, s3
	v_mul_f64_e32 v[22:23], v[14:15], v[14:15]
	v_add_f64_e64 v[30:31], v[42:43], -v[26:27]
	v_add_f64_e64 v[32:33], v[44:45], -v[28:29]
	s_delay_alu instid0(VALU_DEP_3) | instskip(NEXT) | instid1(VALU_DEP_1)
	v_fmac_f64_e32 v[22:23], v[16:17], v[16:17]
	v_cmp_ngt_f64_e64 s3, 0x3fd00000, v[22:23]
                                        ; implicit-def: $vgpr24_vgpr25
	s_and_saveexec_b32 s22, s3
	s_delay_alu instid0(SALU_CYCLE_1)
	s_xor_b32 s3, exec_lo, s22
	s_cbranch_execz .LBB2_47
; %bb.46:                               ;   in Loop: Header=BB2_25 Depth=1
	v_add_f64_e64 v[16:17], -v[16:17], 0
	v_add_f64_e64 v[14:15], -v[14:15], 1.0
                                        ; implicit-def: $vgpr26_vgpr27
	s_delay_alu instid0(VALU_DEP_2) | instskip(NEXT) | instid1(VALU_DEP_2)
	v_mul_f64_e32 v[22:23], v[32:33], v[16:17]
	v_mul_f64_e32 v[24:25], v[32:33], v[14:15]
                                        ; implicit-def: $vgpr32_vgpr33
	s_delay_alu instid0(VALU_DEP_2) | instskip(NEXT) | instid1(VALU_DEP_2)
	v_fma_f64 v[14:15], v[30:31], v[14:15], -v[22:23]
	v_fmac_f64_e32 v[24:25], v[30:31], v[16:17]
                                        ; implicit-def: $vgpr30_vgpr31
	s_delay_alu instid0(VALU_DEP_2) | instskip(NEXT) | instid1(VALU_DEP_2)
	v_add_f64_e64 v[22:23], v[42:43], -v[14:15]
	v_add_f64_e64 v[24:25], v[44:45], -v[24:25]
                                        ; implicit-def: $vgpr16_vgpr17
.LBB2_47:                               ;   in Loop: Header=BB2_25 Depth=1
	s_and_not1_saveexec_b32 s3, s3
	s_cbranch_execz .LBB2_49
; %bb.48:                               ;   in Loop: Header=BB2_25 Depth=1
	v_mul_f64_e32 v[22:23], v[32:33], v[16:17]
	v_mul_f64_e32 v[24:25], v[32:33], v[14:15]
	s_delay_alu instid0(VALU_DEP_2) | instskip(NEXT) | instid1(VALU_DEP_2)
	v_fma_f64 v[14:15], v[30:31], v[14:15], -v[22:23]
	v_fmac_f64_e32 v[24:25], v[30:31], v[16:17]
	s_delay_alu instid0(VALU_DEP_2) | instskip(NEXT) | instid1(VALU_DEP_2)
	v_add_f64_e32 v[22:23], v[26:27], v[14:15]
	v_add_f64_e32 v[24:25], v[28:29], v[24:25]
.LBB2_49:                               ;   in Loop: Header=BB2_25 Depth=1
	s_or_b32 exec_lo, exec_lo, s3
	v_mul_f64_e32 v[14:15], v[6:7], v[6:7]
	v_add_f64_e64 v[26:27], v[38:39], -v[18:19]
	v_add_f64_e64 v[28:29], v[40:41], -v[20:21]
	s_delay_alu instid0(VALU_DEP_3) | instskip(NEXT) | instid1(VALU_DEP_1)
	v_fmac_f64_e32 v[14:15], v[8:9], v[8:9]
	v_cmp_ngt_f64_e64 s3, 0x3fd00000, v[14:15]
                                        ; implicit-def: $vgpr16_vgpr17
	s_and_saveexec_b32 s22, s3
	s_delay_alu instid0(SALU_CYCLE_1)
	s_xor_b32 s3, exec_lo, s22
	s_cbranch_execz .LBB2_51
; %bb.50:                               ;   in Loop: Header=BB2_25 Depth=1
	v_add_f64_e64 v[8:9], -v[8:9], 0
	v_add_f64_e64 v[6:7], -v[6:7], 1.0
                                        ; implicit-def: $vgpr18_vgpr19
	s_delay_alu instid0(VALU_DEP_2) | instskip(NEXT) | instid1(VALU_DEP_2)
	v_mul_f64_e32 v[14:15], v[28:29], v[8:9]
	v_mul_f64_e32 v[16:17], v[28:29], v[6:7]
                                        ; implicit-def: $vgpr28_vgpr29
	s_delay_alu instid0(VALU_DEP_2) | instskip(NEXT) | instid1(VALU_DEP_2)
	v_fma_f64 v[6:7], v[26:27], v[6:7], -v[14:15]
	v_fmac_f64_e32 v[16:17], v[26:27], v[8:9]
                                        ; implicit-def: $vgpr26_vgpr27
	s_delay_alu instid0(VALU_DEP_2) | instskip(NEXT) | instid1(VALU_DEP_2)
	v_add_f64_e64 v[14:15], v[38:39], -v[6:7]
	v_add_f64_e64 v[16:17], v[40:41], -v[16:17]
                                        ; implicit-def: $vgpr8_vgpr9
.LBB2_51:                               ;   in Loop: Header=BB2_25 Depth=1
	s_and_not1_saveexec_b32 s3, s3
	s_cbranch_execz .LBB2_53
; %bb.52:                               ;   in Loop: Header=BB2_25 Depth=1
	v_mul_f64_e32 v[14:15], v[28:29], v[8:9]
	v_mul_f64_e32 v[16:17], v[28:29], v[6:7]
	s_delay_alu instid0(VALU_DEP_2) | instskip(NEXT) | instid1(VALU_DEP_2)
	v_fma_f64 v[6:7], v[26:27], v[6:7], -v[14:15]
	v_fmac_f64_e32 v[16:17], v[26:27], v[8:9]
	s_delay_alu instid0(VALU_DEP_2) | instskip(NEXT) | instid1(VALU_DEP_2)
	v_add_f64_e32 v[14:15], v[18:19], v[6:7]
	v_add_f64_e32 v[16:17], v[20:21], v[16:17]
.LBB2_53:                               ;   in Loop: Header=BB2_25 Depth=1
	s_or_b32 exec_lo, exec_lo, s3
	v_mul_f64_e32 v[6:7], v[2:3], v[2:3]
	v_add_f64_e64 v[18:19], v[34:35], -v[10:11]
	v_add_f64_e64 v[20:21], v[36:37], -v[12:13]
	s_delay_alu instid0(VALU_DEP_3) | instskip(NEXT) | instid1(VALU_DEP_1)
	v_fmac_f64_e32 v[6:7], v[4:5], v[4:5]
	v_cmp_ngt_f64_e64 s3, 0x3fd00000, v[6:7]
                                        ; implicit-def: $vgpr8_vgpr9
	s_and_saveexec_b32 s22, s3
	s_delay_alu instid0(SALU_CYCLE_1)
	s_xor_b32 s3, exec_lo, s22
	s_cbranch_execnz .LBB2_59
; %bb.54:                               ;   in Loop: Header=BB2_25 Depth=1
	s_and_not1_saveexec_b32 s3, s3
	s_cbranch_execnz .LBB2_60
.LBB2_55:                               ;   in Loop: Header=BB2_25 Depth=1
	s_or_b32 exec_lo, exec_lo, s3
	s_and_saveexec_b32 s3, vcc_lo
	s_delay_alu instid0(SALU_CYCLE_1)
	s_xor_b32 s3, exec_lo, s3
	s_cbranch_execnz .LBB2_61
.LBB2_56:                               ;   in Loop: Header=BB2_25 Depth=1
	s_or_b32 exec_lo, exec_lo, s3
	s_and_saveexec_b32 s3, s0
	s_cbranch_execnz .LBB2_62
.LBB2_57:                               ;   in Loop: Header=BB2_25 Depth=1
	s_or_b32 exec_lo, exec_lo, s3
	s_and_saveexec_b32 s0, s1
	s_cbranch_execnz .LBB2_63
.LBB2_58:                               ;   in Loop: Header=BB2_25 Depth=1
	s_or_b32 exec_lo, exec_lo, s0
	s_and_saveexec_b32 s0, s2
	s_cbranch_execz .LBB2_24
	s_branch .LBB2_64
.LBB2_59:                               ;   in Loop: Header=BB2_25 Depth=1
	v_add_f64_e64 v[4:5], -v[4:5], 0
	v_add_f64_e64 v[2:3], -v[2:3], 1.0
                                        ; implicit-def: $vgpr10_vgpr11
	s_delay_alu instid0(VALU_DEP_2) | instskip(NEXT) | instid1(VALU_DEP_2)
	v_mul_f64_e32 v[6:7], v[20:21], v[4:5]
	v_mul_f64_e32 v[8:9], v[20:21], v[2:3]
                                        ; implicit-def: $vgpr20_vgpr21
	s_delay_alu instid0(VALU_DEP_2) | instskip(NEXT) | instid1(VALU_DEP_2)
	v_fma_f64 v[2:3], v[18:19], v[2:3], -v[6:7]
	v_fmac_f64_e32 v[8:9], v[18:19], v[4:5]
                                        ; implicit-def: $vgpr18_vgpr19
	s_delay_alu instid0(VALU_DEP_2) | instskip(NEXT) | instid1(VALU_DEP_2)
	v_add_f64_e64 v[6:7], v[34:35], -v[2:3]
	v_add_f64_e64 v[8:9], v[36:37], -v[8:9]
                                        ; implicit-def: $vgpr4_vgpr5
	s_and_not1_saveexec_b32 s3, s3
	s_cbranch_execz .LBB2_55
.LBB2_60:                               ;   in Loop: Header=BB2_25 Depth=1
	v_mul_f64_e32 v[6:7], v[20:21], v[4:5]
	v_mul_f64_e32 v[8:9], v[20:21], v[2:3]
	s_delay_alu instid0(VALU_DEP_2) | instskip(NEXT) | instid1(VALU_DEP_2)
	v_fma_f64 v[2:3], v[18:19], v[2:3], -v[6:7]
	v_fmac_f64_e32 v[8:9], v[18:19], v[4:5]
	s_delay_alu instid0(VALU_DEP_2) | instskip(NEXT) | instid1(VALU_DEP_2)
	v_add_f64_e32 v[6:7], v[10:11], v[2:3]
	v_add_f64_e32 v[8:9], v[12:13], v[8:9]
	s_or_b32 exec_lo, exec_lo, s3
	s_and_saveexec_b32 s3, vcc_lo
	s_delay_alu instid0(SALU_CYCLE_1)
	s_xor_b32 s3, exec_lo, s3
	s_cbranch_execz .LBB2_56
.LBB2_61:                               ;   in Loop: Header=BB2_25 Depth=1
	v_lshl_add_u64 v[2:3], v[58:59], 4, s[6:7]
	global_store_b128 v[2:3], v[50:53], off
	s_wait_xcnt 0x0
	s_or_b32 exec_lo, exec_lo, s3
	s_and_saveexec_b32 s3, s0
	s_cbranch_execz .LBB2_57
.LBB2_62:                               ;   in Loop: Header=BB2_25 Depth=1
	v_lshl_add_u64 v[2:3], v[60:61], 4, s[6:7]
	global_store_b128 v[2:3], v[22:25], off
	s_wait_xcnt 0x0
	s_or_b32 exec_lo, exec_lo, s3
	s_and_saveexec_b32 s0, s1
	s_cbranch_execz .LBB2_58
.LBB2_63:                               ;   in Loop: Header=BB2_25 Depth=1
	v_lshl_add_u64 v[2:3], v[62:63], 4, s[6:7]
	global_store_b128 v[2:3], v[14:17], off
	s_wait_xcnt 0x0
	s_or_b32 exec_lo, exec_lo, s0
	s_and_saveexec_b32 s0, s2
	s_cbranch_execz .LBB2_24
.LBB2_64:                               ;   in Loop: Header=BB2_25 Depth=1
	v_lshl_add_u64 v[2:3], v[64:65], 4, s[6:7]
	global_store_b128 v[2:3], v[6:9], off
	s_branch .LBB2_24
.LBB2_65:
	s_sendmsg sendmsg(MSG_DEALLOC_VGPRS)
	s_endpgm
	.section	.rodata,"a",@progbits
	.p2align	6, 0x0
	.amdhsa_kernel _ZN2at6native12_GLOBAL__N_125multi_tensor_apply_kernelINS1_18TensorListMetadataILi4EEENS1_20TernaryOpListFunctorIN3c107complexIdEELi4ELi3ELi3EEEJNS0_11LerpFunctorIS8_EEEEEvT_T0_DpT1_
		.amdhsa_group_segment_fixed_size 0
		.amdhsa_private_segment_fixed_size 0
		.amdhsa_kernarg_size 3312
		.amdhsa_user_sgpr_count 2
		.amdhsa_user_sgpr_dispatch_ptr 0
		.amdhsa_user_sgpr_queue_ptr 0
		.amdhsa_user_sgpr_kernarg_segment_ptr 1
		.amdhsa_user_sgpr_dispatch_id 0
		.amdhsa_user_sgpr_kernarg_preload_length 0
		.amdhsa_user_sgpr_kernarg_preload_offset 0
		.amdhsa_user_sgpr_private_segment_size 0
		.amdhsa_wavefront_size32 1
		.amdhsa_uses_dynamic_stack 0
		.amdhsa_enable_private_segment 0
		.amdhsa_system_sgpr_workgroup_id_x 1
		.amdhsa_system_sgpr_workgroup_id_y 0
		.amdhsa_system_sgpr_workgroup_id_z 0
		.amdhsa_system_sgpr_workgroup_info 0
		.amdhsa_system_vgpr_workitem_id 0
		.amdhsa_next_free_vgpr 70
		.amdhsa_next_free_sgpr 27
		.amdhsa_named_barrier_count 0
		.amdhsa_reserve_vcc 1
		.amdhsa_float_round_mode_32 0
		.amdhsa_float_round_mode_16_64 0
		.amdhsa_float_denorm_mode_32 3
		.amdhsa_float_denorm_mode_16_64 3
		.amdhsa_fp16_overflow 0
		.amdhsa_memory_ordered 1
		.amdhsa_forward_progress 1
		.amdhsa_inst_pref_size 23
		.amdhsa_round_robin_scheduling 0
		.amdhsa_exception_fp_ieee_invalid_op 0
		.amdhsa_exception_fp_denorm_src 0
		.amdhsa_exception_fp_ieee_div_zero 0
		.amdhsa_exception_fp_ieee_overflow 0
		.amdhsa_exception_fp_ieee_underflow 0
		.amdhsa_exception_fp_ieee_inexact 0
		.amdhsa_exception_int_div_zero 0
	.end_amdhsa_kernel
	.section	.text._ZN2at6native12_GLOBAL__N_125multi_tensor_apply_kernelINS1_18TensorListMetadataILi4EEENS1_20TernaryOpListFunctorIN3c107complexIdEELi4ELi3ELi3EEEJNS0_11LerpFunctorIS8_EEEEEvT_T0_DpT1_,"axG",@progbits,_ZN2at6native12_GLOBAL__N_125multi_tensor_apply_kernelINS1_18TensorListMetadataILi4EEENS1_20TernaryOpListFunctorIN3c107complexIdEELi4ELi3ELi3EEEJNS0_11LerpFunctorIS8_EEEEEvT_T0_DpT1_,comdat
.Lfunc_end2:
	.size	_ZN2at6native12_GLOBAL__N_125multi_tensor_apply_kernelINS1_18TensorListMetadataILi4EEENS1_20TernaryOpListFunctorIN3c107complexIdEELi4ELi3ELi3EEEJNS0_11LerpFunctorIS8_EEEEEvT_T0_DpT1_, .Lfunc_end2-_ZN2at6native12_GLOBAL__N_125multi_tensor_apply_kernelINS1_18TensorListMetadataILi4EEENS1_20TernaryOpListFunctorIN3c107complexIdEELi4ELi3ELi3EEEJNS0_11LerpFunctorIS8_EEEEEvT_T0_DpT1_
                                        ; -- End function
	.set _ZN2at6native12_GLOBAL__N_125multi_tensor_apply_kernelINS1_18TensorListMetadataILi4EEENS1_20TernaryOpListFunctorIN3c107complexIdEELi4ELi3ELi3EEEJNS0_11LerpFunctorIS8_EEEEEvT_T0_DpT1_.num_vgpr, 70
	.set _ZN2at6native12_GLOBAL__N_125multi_tensor_apply_kernelINS1_18TensorListMetadataILi4EEENS1_20TernaryOpListFunctorIN3c107complexIdEELi4ELi3ELi3EEEJNS0_11LerpFunctorIS8_EEEEEvT_T0_DpT1_.num_agpr, 0
	.set _ZN2at6native12_GLOBAL__N_125multi_tensor_apply_kernelINS1_18TensorListMetadataILi4EEENS1_20TernaryOpListFunctorIN3c107complexIdEELi4ELi3ELi3EEEJNS0_11LerpFunctorIS8_EEEEEvT_T0_DpT1_.numbered_sgpr, 27
	.set _ZN2at6native12_GLOBAL__N_125multi_tensor_apply_kernelINS1_18TensorListMetadataILi4EEENS1_20TernaryOpListFunctorIN3c107complexIdEELi4ELi3ELi3EEEJNS0_11LerpFunctorIS8_EEEEEvT_T0_DpT1_.num_named_barrier, 0
	.set _ZN2at6native12_GLOBAL__N_125multi_tensor_apply_kernelINS1_18TensorListMetadataILi4EEENS1_20TernaryOpListFunctorIN3c107complexIdEELi4ELi3ELi3EEEJNS0_11LerpFunctorIS8_EEEEEvT_T0_DpT1_.private_seg_size, 0
	.set _ZN2at6native12_GLOBAL__N_125multi_tensor_apply_kernelINS1_18TensorListMetadataILi4EEENS1_20TernaryOpListFunctorIN3c107complexIdEELi4ELi3ELi3EEEJNS0_11LerpFunctorIS8_EEEEEvT_T0_DpT1_.uses_vcc, 1
	.set _ZN2at6native12_GLOBAL__N_125multi_tensor_apply_kernelINS1_18TensorListMetadataILi4EEENS1_20TernaryOpListFunctorIN3c107complexIdEELi4ELi3ELi3EEEJNS0_11LerpFunctorIS8_EEEEEvT_T0_DpT1_.uses_flat_scratch, 0
	.set _ZN2at6native12_GLOBAL__N_125multi_tensor_apply_kernelINS1_18TensorListMetadataILi4EEENS1_20TernaryOpListFunctorIN3c107complexIdEELi4ELi3ELi3EEEJNS0_11LerpFunctorIS8_EEEEEvT_T0_DpT1_.has_dyn_sized_stack, 0
	.set _ZN2at6native12_GLOBAL__N_125multi_tensor_apply_kernelINS1_18TensorListMetadataILi4EEENS1_20TernaryOpListFunctorIN3c107complexIdEELi4ELi3ELi3EEEJNS0_11LerpFunctorIS8_EEEEEvT_T0_DpT1_.has_recursion, 0
	.set _ZN2at6native12_GLOBAL__N_125multi_tensor_apply_kernelINS1_18TensorListMetadataILi4EEENS1_20TernaryOpListFunctorIN3c107complexIdEELi4ELi3ELi3EEEJNS0_11LerpFunctorIS8_EEEEEvT_T0_DpT1_.has_indirect_call, 0
	.section	.AMDGPU.csdata,"",@progbits
; Kernel info:
; codeLenInByte = 2888
; TotalNumSgprs: 29
; NumVgprs: 70
; ScratchSize: 0
; MemoryBound: 1
; FloatMode: 240
; IeeeMode: 1
; LDSByteSize: 0 bytes/workgroup (compile time only)
; SGPRBlocks: 0
; VGPRBlocks: 4
; NumSGPRsForWavesPerEU: 29
; NumVGPRsForWavesPerEU: 70
; NamedBarCnt: 0
; Occupancy: 12
; WaveLimiterHint : 0
; COMPUTE_PGM_RSRC2:SCRATCH_EN: 0
; COMPUTE_PGM_RSRC2:USER_SGPR: 2
; COMPUTE_PGM_RSRC2:TRAP_HANDLER: 0
; COMPUTE_PGM_RSRC2:TGID_X_EN: 1
; COMPUTE_PGM_RSRC2:TGID_Y_EN: 0
; COMPUTE_PGM_RSRC2:TGID_Z_EN: 0
; COMPUTE_PGM_RSRC2:TIDIG_COMP_CNT: 0
	.section	.text._ZN2at6native12_GLOBAL__N_125multi_tensor_apply_kernelINS1_18TensorListMetadataILi4EEENS1_20TernaryOpListFunctorIN3c107complexIfEELi4ELi3ELi3EEEJNS0_11LerpFunctorIS8_EEEEEvT_T0_DpT1_,"axG",@progbits,_ZN2at6native12_GLOBAL__N_125multi_tensor_apply_kernelINS1_18TensorListMetadataILi4EEENS1_20TernaryOpListFunctorIN3c107complexIfEELi4ELi3ELi3EEEJNS0_11LerpFunctorIS8_EEEEEvT_T0_DpT1_,comdat
	.globl	_ZN2at6native12_GLOBAL__N_125multi_tensor_apply_kernelINS1_18TensorListMetadataILi4EEENS1_20TernaryOpListFunctorIN3c107complexIfEELi4ELi3ELi3EEEJNS0_11LerpFunctorIS8_EEEEEvT_T0_DpT1_ ; -- Begin function _ZN2at6native12_GLOBAL__N_125multi_tensor_apply_kernelINS1_18TensorListMetadataILi4EEENS1_20TernaryOpListFunctorIN3c107complexIfEELi4ELi3ELi3EEEJNS0_11LerpFunctorIS8_EEEEEvT_T0_DpT1_
	.p2align	8
	.type	_ZN2at6native12_GLOBAL__N_125multi_tensor_apply_kernelINS1_18TensorListMetadataILi4EEENS1_20TernaryOpListFunctorIN3c107complexIfEELi4ELi3ELi3EEEJNS0_11LerpFunctorIS8_EEEEEvT_T0_DpT1_,@function
_ZN2at6native12_GLOBAL__N_125multi_tensor_apply_kernelINS1_18TensorListMetadataILi4EEENS1_20TernaryOpListFunctorIN3c107complexIfEELi4ELi3ELi3EEEJNS0_11LerpFunctorIS8_EEEEEvT_T0_DpT1_: ; @_ZN2at6native12_GLOBAL__N_125multi_tensor_apply_kernelINS1_18TensorListMetadataILi4EEENS1_20TernaryOpListFunctorIN3c107complexIfEELi4ELi3ELi3EEEJNS0_11LerpFunctorIS8_EEEEEvT_T0_DpT1_
; %bb.0:
	s_bfe_u32 s2, ttmp6, 0x4000c
	s_and_b32 s3, ttmp6, 15
	s_add_co_i32 s2, s2, 1
	s_getreg_b32 s4, hwreg(HW_REG_IB_STS2, 6, 4)
	s_mul_i32 s2, ttmp9, s2
	s_mov_b32 s13, 0
	s_add_co_i32 s3, s3, s2
	s_cmp_eq_u32 s4, 0
	s_cselect_b32 s12, ttmp9, s3
	s_load_u8 s14, s[0:1], s12 offset:0x5a0
	s_add_nc_u64 s[2:3], s[0:1], s[12:13]
	s_mul_u64 s[4:5], s[12:13], 3
	s_delay_alu instid0(SALU_CYCLE_1)
	s_add_nc_u64 s[4:5], s[2:3], s[4:5]
	s_load_b32 s22, s[4:5], 0x6e0
	s_wait_kmcnt 0x0
	s_clause 0x4
	s_load_b64 s[2:3], s[0:1], s14 offset:0x240 scale_offset
	s_load_b64 s[6:7], s[0:1], s14 offset:0x360 scale_offset
	;; [unrolled: 1-line block ×5, first 2 shown]
	s_ashr_i32 s23, s22, 31
	s_delay_alu instid0(SALU_CYCLE_1)
	s_lshl_b64 s[4:5], s[22:23], 19
	s_wait_kmcnt 0x0
	s_add_nc_u64 s[14:15], s[2:3], s[4:5]
	s_add_nc_u64 s[16:17], s[6:7], s[4:5]
	;; [unrolled: 1-line block ×3, first 2 shown]
	s_or_b32 s12, s16, s14
	s_delay_alu instid0(SALU_CYCLE_1)
	s_and_b32 s20, s12, 31
	s_and_b32 s12, s18, 31
	s_cmp_lg_u32 s20, 0
	s_add_nc_u64 s[20:21], s[8:9], s[4:5]
	s_cselect_b32 s28, -1, 0
	s_lshl_b64 s[22:23], s[22:23], 16
	s_and_b64 s[26:27], s[20:21], 31
	s_cmp_lg_u64 s[12:13], 0
	s_cselect_b32 s29, -1, 0
	s_and_b32 s12, s24, 3
	s_delay_alu instid0(SALU_CYCLE_1) | instskip(SKIP_3) | instid1(SALU_CYCLE_1)
	s_or_b64 s[12:13], s[26:27], s[12:13]
	s_or_b32 s26, s28, s29
	s_cmp_lg_u64 s[12:13], 0
	s_cselect_b32 s12, -1, 0
	s_or_b32 s26, s26, s12
	s_sub_nc_u64 s[12:13], s[24:25], s[22:23]
	s_and_not1_b32 vcc_lo, exec_lo, s26
	s_mov_b32 s22, -1
	s_cbranch_vccz .LBB3_21
; %bb.1:
	v_min_i64 v[30:31], 0x10000, s[12:13]
	v_dual_mov_b32 v33, 0 :: v_dual_lshlrev_b32 v32, 2, v0
	s_mov_b32 s26, exec_lo
	s_delay_alu instid0(VALU_DEP_1)
	v_cmpx_lt_i64_e64 v[32:33], v[30:31]
	s_cbranch_execz .LBB3_20
; %bb.2:
	s_load_b32 s22, s[0:1], 0xbfc
	v_dual_mov_b32 v1, v33 :: v_dual_lshlrev_b32 v32, 5, v0
	s_mov_b32 s23, 0
	s_delay_alu instid0(SALU_CYCLE_1) | instskip(NEXT) | instid1(VALU_DEP_1)
	s_mov_b32 s25, s23
	v_mov_b64_e32 v[34:35], v[0:1]
	s_mov_b32 s27, s23
	s_wait_kmcnt 0x0
	s_and_b32 s22, s22, 0xffff
	s_delay_alu instid0(SALU_CYCLE_1)
	s_lshl_b32 s24, s22, 5
	s_branch .LBB3_4
.LBB3_3:                                ;   in Loop: Header=BB3_4 Depth=1
	s_or_b32 exec_lo, exec_lo, s28
	v_add_nc_u64_e32 v[34:35], s[22:23], v[34:35]
	s_add_nc_u64 s[20:21], s[20:21], s[24:25]
	s_add_nc_u64 s[14:15], s[14:15], s[24:25]
	s_add_nc_u64 s[18:19], s[18:19], s[24:25]
	s_delay_alu instid0(VALU_DEP_1) | instskip(NEXT) | instid1(VALU_DEP_1)
	v_lshlrev_b64_e32 v[6:7], 2, v[34:35]
	v_cmp_ge_i64_e32 vcc_lo, v[6:7], v[30:31]
	v_add_nc_u64_e32 v[6:7], s[16:17], v[32:33]
	s_add_nc_u64 s[16:17], s[16:17], s[24:25]
	s_clause 0x1
	global_store_b128 v[6:7], v[2:5], off
	global_store_b128 v[6:7], v[18:21], off offset:16
	s_or_b32 s27, vcc_lo, s27
	s_wait_xcnt 0x0
	s_and_not1_b32 exec_lo, exec_lo, s27
	s_cbranch_execz .LBB3_20
.LBB3_4:                                ; =>This Inner Loop Header: Depth=1
	v_add_nc_u64_e32 v[2:3], s[14:15], v[32:33]
	v_add_nc_u64_e32 v[4:5], s[20:21], v[32:33]
	;; [unrolled: 1-line block ×3, first 2 shown]
	s_mov_b32 s28, exec_lo
	global_load_b128 v[18:21], v[2:3], off
	global_load_b128 v[22:25], v[4:5], off
	;; [unrolled: 1-line block ×3, first 2 shown]
	global_load_b128 v[6:9], v[2:3], off offset:16
	global_load_b128 v[10:13], v[4:5], off offset:16
	;; [unrolled: 1-line block ×3, first 2 shown]
	s_wait_loadcnt 0x3
	s_wait_xcnt 0x1
	v_pk_add_f32 v[4:5], v[26:27], v[22:23] neg_lo:[0,1] neg_hi:[0,1]
	v_pk_mul_f32 v[2:3], v[18:19], v[18:19]
	s_delay_alu instid0(VALU_DEP_1) | instskip(SKIP_1) | instid1(VALU_DEP_1)
	v_add_f32_e32 v1, v2, v3
                                        ; implicit-def: $vgpr2_vgpr3
	s_wait_xcnt 0x0
	v_cmpx_ngt_f32_e32 0x3e800000, v1
	s_xor_b32 s28, exec_lo, s28
; %bb.5:                                ;   in Loop: Header=BB3_4 Depth=1
	v_dual_sub_f32 v2, 0, v19 :: v_dual_sub_f32 v18, 1.0, v18
	s_delay_alu instid0(VALU_DEP_1) | instskip(NEXT) | instid1(VALU_DEP_1)
	v_pk_mul_f32 v[2:3], v[4:5], v[2:3] op_sel:[1,0] op_sel_hi:[0,0]
	v_pk_fma_f32 v[36:37], v[4:5], v[18:19], v[2:3] op_sel_hi:[1,0,1]
	v_pk_fma_f32 v[2:3], v[4:5], v[18:19], v[2:3] neg_lo:[0,0,1] neg_hi:[0,0,1]
                                        ; implicit-def: $vgpr4_vgpr5
	s_delay_alu instid0(VALU_DEP_2) | instskip(NEXT) | instid1(VALU_DEP_1)
	v_mov_b32_e32 v3, v37
	v_pk_add_f32 v[2:3], v[26:27], v[2:3] neg_lo:[0,1] neg_hi:[0,1]
; %bb.6:                                ;   in Loop: Header=BB3_4 Depth=1
	s_and_not1_saveexec_b32 s28, s28
; %bb.7:                                ;   in Loop: Header=BB3_4 Depth=1
	v_pk_mul_f32 v[2:3], v[4:5], v[18:19] op_sel:[1,1] op_sel_hi:[1,0]
	s_delay_alu instid0(VALU_DEP_1) | instskip(SKIP_1) | instid1(VALU_DEP_2)
	v_pk_fma_f32 v[26:27], v[4:5], v[18:19], v[2:3] op_sel_hi:[0,1,1]
	v_pk_fma_f32 v[2:3], v[4:5], v[18:19], v[2:3] neg_lo:[0,0,1] neg_hi:[0,0,1]
	v_mov_b32_e32 v3, v27
	s_delay_alu instid0(VALU_DEP_1)
	v_pk_add_f32 v[2:3], v[22:23], v[2:3]
; %bb.8:                                ;   in Loop: Header=BB3_4 Depth=1
	s_or_b32 exec_lo, exec_lo, s28
	v_pk_mul_f32 v[4:5], v[20:21], v[20:21]
	v_pk_add_f32 v[18:19], v[28:29], v[24:25] neg_lo:[0,1] neg_hi:[0,1]
	s_mov_b32 s28, exec_lo
	s_delay_alu instid0(VALU_DEP_2) | instskip(NEXT) | instid1(VALU_DEP_1)
	v_add_f32_e32 v1, v4, v5
	v_cmpx_ngt_f32_e32 0x3e800000, v1
	s_xor_b32 s28, exec_lo, s28
; %bb.9:                                ;   in Loop: Header=BB3_4 Depth=1
	v_dual_sub_f32 v4, 0, v21 :: v_dual_sub_f32 v20, 1.0, v20
                                        ; implicit-def: $vgpr24_vgpr25
	s_delay_alu instid0(VALU_DEP_1) | instskip(NEXT) | instid1(VALU_DEP_1)
	v_pk_mul_f32 v[4:5], v[18:19], v[4:5] op_sel:[1,0] op_sel_hi:[0,0]
	v_pk_fma_f32 v[22:23], v[18:19], v[20:21], v[4:5] op_sel_hi:[1,0,1]
	v_pk_fma_f32 v[4:5], v[18:19], v[20:21], v[4:5] neg_lo:[0,0,1] neg_hi:[0,0,1]
                                        ; implicit-def: $vgpr18_vgpr19
                                        ; implicit-def: $vgpr20_vgpr21
	s_delay_alu instid0(VALU_DEP_2) | instskip(NEXT) | instid1(VALU_DEP_1)
	v_mov_b32_e32 v5, v23
	v_pk_add_f32 v[4:5], v[28:29], v[4:5] neg_lo:[0,1] neg_hi:[0,1]
; %bb.10:                               ;   in Loop: Header=BB3_4 Depth=1
	s_and_not1_saveexec_b32 s28, s28
; %bb.11:                               ;   in Loop: Header=BB3_4 Depth=1
	v_pk_mul_f32 v[4:5], v[18:19], v[20:21] op_sel:[1,1] op_sel_hi:[1,0]
	s_delay_alu instid0(VALU_DEP_1) | instskip(SKIP_1) | instid1(VALU_DEP_2)
	v_pk_fma_f32 v[22:23], v[18:19], v[20:21], v[4:5] op_sel_hi:[0,1,1]
	v_pk_fma_f32 v[4:5], v[18:19], v[20:21], v[4:5] neg_lo:[0,0,1] neg_hi:[0,0,1]
	v_mov_b32_e32 v5, v23
	s_delay_alu instid0(VALU_DEP_1)
	v_pk_add_f32 v[4:5], v[24:25], v[4:5]
; %bb.12:                               ;   in Loop: Header=BB3_4 Depth=1
	s_or_b32 exec_lo, exec_lo, s28
	s_wait_loadcnt 0x2
	v_pk_mul_f32 v[18:19], v[6:7], v[6:7]
	s_wait_loadcnt 0x0
	v_pk_add_f32 v[20:21], v[14:15], v[10:11] neg_lo:[0,1] neg_hi:[0,1]
	s_mov_b32 s28, exec_lo
	s_delay_alu instid0(VALU_DEP_2) | instskip(NEXT) | instid1(VALU_DEP_1)
	v_add_f32_e32 v1, v18, v19
                                        ; implicit-def: $vgpr18_vgpr19
	v_cmpx_ngt_f32_e32 0x3e800000, v1
	s_xor_b32 s28, exec_lo, s28
; %bb.13:                               ;   in Loop: Header=BB3_4 Depth=1
	v_dual_sub_f32 v18, 0, v7 :: v_dual_sub_f32 v22, 1.0, v6
	s_delay_alu instid0(VALU_DEP_1) | instskip(NEXT) | instid1(VALU_DEP_1)
	v_pk_mul_f32 v[18:19], v[20:21], v[18:19] op_sel:[1,0] op_sel_hi:[0,0]
	v_pk_fma_f32 v[24:25], v[20:21], v[22:23], v[18:19] op_sel_hi:[1,0,1]
	v_pk_fma_f32 v[18:19], v[20:21], v[22:23], v[18:19] neg_lo:[0,0,1] neg_hi:[0,0,1]
                                        ; implicit-def: $vgpr20_vgpr21
	s_delay_alu instid0(VALU_DEP_2) | instskip(NEXT) | instid1(VALU_DEP_1)
	v_mov_b32_e32 v19, v25
	v_pk_add_f32 v[18:19], v[14:15], v[18:19] neg_lo:[0,1] neg_hi:[0,1]
; %bb.14:                               ;   in Loop: Header=BB3_4 Depth=1
	s_and_not1_saveexec_b32 s28, s28
; %bb.15:                               ;   in Loop: Header=BB3_4 Depth=1
	v_pk_mul_f32 v[14:15], v[20:21], v[6:7] op_sel:[1,1] op_sel_hi:[1,0]
	s_delay_alu instid0(VALU_DEP_1) | instskip(SKIP_1) | instid1(VALU_DEP_2)
	v_pk_fma_f32 v[18:19], v[20:21], v[6:7], v[14:15] op_sel_hi:[0,1,1]
	v_pk_fma_f32 v[6:7], v[20:21], v[6:7], v[14:15] neg_lo:[0,0,1] neg_hi:[0,0,1]
	v_mov_b32_e32 v7, v19
	s_delay_alu instid0(VALU_DEP_1)
	v_pk_add_f32 v[18:19], v[10:11], v[6:7]
; %bb.16:                               ;   in Loop: Header=BB3_4 Depth=1
	s_or_b32 exec_lo, exec_lo, s28
	v_pk_mul_f32 v[6:7], v[8:9], v[8:9]
	s_mov_b32 s28, exec_lo
	s_delay_alu instid0(VALU_DEP_1) | instskip(SKIP_1) | instid1(VALU_DEP_2)
	v_add_f32_e32 v1, v6, v7
	v_pk_add_f32 v[6:7], v[16:17], v[12:13] neg_lo:[0,1] neg_hi:[0,1]
	v_cmpx_ngt_f32_e32 0x3e800000, v1
	s_xor_b32 s28, exec_lo, s28
; %bb.17:                               ;   in Loop: Header=BB3_4 Depth=1
	v_dual_sub_f32 v10, 0, v9 :: v_dual_sub_f32 v8, 1.0, v8
	s_delay_alu instid0(VALU_DEP_1) | instskip(NEXT) | instid1(VALU_DEP_1)
	v_pk_mul_f32 v[10:11], v[6:7], v[10:11] op_sel:[1,0] op_sel_hi:[0,0]
	v_pk_fma_f32 v[12:13], v[6:7], v[8:9], v[10:11] op_sel_hi:[1,0,1]
	v_pk_fma_f32 v[6:7], v[6:7], v[8:9], v[10:11] neg_lo:[0,0,1] neg_hi:[0,0,1]
                                        ; implicit-def: $vgpr8_vgpr9
	s_delay_alu instid0(VALU_DEP_2) | instskip(NEXT) | instid1(VALU_DEP_1)
	v_mov_b32_e32 v7, v13
                                        ; implicit-def: $vgpr12_vgpr13
	v_pk_add_f32 v[20:21], v[16:17], v[6:7] neg_lo:[0,1] neg_hi:[0,1]
                                        ; implicit-def: $vgpr6_vgpr7
; %bb.18:                               ;   in Loop: Header=BB3_4 Depth=1
	s_and_not1_saveexec_b32 s28, s28
	s_cbranch_execz .LBB3_3
; %bb.19:                               ;   in Loop: Header=BB3_4 Depth=1
	v_pk_mul_f32 v[10:11], v[6:7], v[8:9] op_sel:[1,1] op_sel_hi:[1,0]
	s_delay_alu instid0(VALU_DEP_1) | instskip(SKIP_1) | instid1(VALU_DEP_2)
	v_pk_fma_f32 v[14:15], v[6:7], v[8:9], v[10:11] op_sel_hi:[0,1,1]
	v_pk_fma_f32 v[6:7], v[6:7], v[8:9], v[10:11] neg_lo:[0,0,1] neg_hi:[0,0,1]
	v_mov_b32_e32 v7, v15
	s_delay_alu instid0(VALU_DEP_1)
	v_pk_add_f32 v[20:21], v[12:13], v[6:7]
	s_branch .LBB3_3
.LBB3_20:
	s_or_b32 exec_lo, exec_lo, s26
	s_mov_b32 s22, 0
.LBB3_21:
	s_delay_alu instid0(SALU_CYCLE_1)
	s_and_not1_b32 vcc_lo, exec_lo, s22
	s_cbranch_vccnz .LBB3_65
; %bb.22:
	v_cmp_lt_i64_e64 s14, s[12:13], 1
	s_and_b32 vcc_lo, exec_lo, s14
	s_cbranch_vccnz .LBB3_65
; %bb.23:
	s_load_b32 s0, s[0:1], 0xbfc
	v_min_i64 v[2:3], 0x10000, s[12:13]
	v_min_u64 v[4:5], 0x10000, s[12:13]
	v_dual_mov_b32 v1, 0 :: v_dual_lshlrev_b32 v14, 3, v0
	s_wait_xcnt 0x0
	s_mov_b32 s1, 0
	s_delay_alu instid0(SALU_CYCLE_1) | instskip(NEXT) | instid1(VALU_DEP_1)
	s_mov_b32 s17, s1
	v_dual_mov_b32 v15, v1 :: v_dual_mov_b32 v43, v1
	s_mov_b32 s13, s1
	s_mov_b32 s15, s1
	s_delay_alu instid0(VALU_DEP_1) | instskip(SKIP_4) | instid1(SALU_CYCLE_1)
	v_add_nc_u64_e32 v[6:7], s[10:11], v[14:15]
	v_add_nc_u64_e32 v[8:9], s[8:9], v[14:15]
	;; [unrolled: 1-line block ×3, first 2 shown]
	s_wait_kmcnt 0x0
	s_and_b32 s0, s0, 0xffff
	v_add_nc_u64_e32 v[12:13], s[0:1], v[0:1]
	v_mad_nc_u64_u32 v[34:35], s0, 24, v[14:15]
	s_lshl_b32 s16, s0, 4
	s_mul_i32 s14, s0, 3
	v_add_nc_u64_e32 v[26:27], s[16:17], v[14:15]
	s_lshl_b32 s12, s0, 1
	v_add_nc_u64_e32 v[14:15], s[6:7], v[14:15]
	v_lshlrev_b32_e32 v42, 3, v12
	v_add_nc_u64_e32 v[16:17], s[14:15], v[0:1]
	v_add_nc_u64_e32 v[18:19], s[12:13], v[0:1]
	;; [unrolled: 1-line block ×14, first 2 shown]
	s_lshl_b32 s6, s0, 2
	s_mov_b32 s7, s1
	s_lshl_b32 s8, s0, 5
	s_mov_b32 s9, s1
	s_mov_b64 s[10:11], 0
	s_branch .LBB3_25
.LBB3_24:                               ;   in Loop: Header=BB3_25 Depth=1
	s_wait_xcnt 0x0
	s_or_b32 exec_lo, exec_lo, s0
	s_add_nc_u64 s[10:11], s[10:11], s[6:7]
	v_add_nc_u64_e32 v[6:7], s[8:9], v[6:7]
	v_cmp_ge_i64_e32 vcc_lo, s[10:11], v[2:3]
	v_add_nc_u64_e32 v[8:9], s[8:9], v[8:9]
	v_add_nc_u64_e32 v[10:11], s[8:9], v[10:11]
	;; [unrolled: 1-line block ×15, first 2 shown]
	s_cbranch_vccnz .LBB3_65
.LBB3_25:                               ; =>This Inner Loop Header: Depth=1
	v_add_nc_u64_e32 v[44:45], s[10:11], v[0:1]
	v_dual_mov_b32 v50, 0 :: v_dual_mov_b32 v51, 0
	v_dual_mov_b32 v58, 0 :: v_dual_mov_b32 v59, 0
	s_delay_alu instid0(VALU_DEP_3)
	v_cmp_lt_u64_e32 vcc_lo, v[44:45], v[4:5]
	s_and_saveexec_b32 s0, vcc_lo
	s_cbranch_execz .LBB3_27
; %bb.26:                               ;   in Loop: Header=BB3_25 Depth=1
	v_add_nc_u64_e32 v[44:45], s[4:5], v[8:9]
	v_add_nc_u64_e32 v[46:47], s[4:5], v[6:7]
	global_load_b64 v[50:51], v[44:45], off
	global_load_b64 v[58:59], v[46:47], off
.LBB3_27:                               ;   in Loop: Header=BB3_25 Depth=1
	s_wait_xcnt 0x0
	s_or_b32 exec_lo, exec_lo, s0
	v_dual_mov_b32 v48, 0 :: v_dual_mov_b32 v66, 0
	v_mov_b32_e32 v67, 0
	s_and_saveexec_b32 s0, vcc_lo
	s_cbranch_execz .LBB3_29
; %bb.28:                               ;   in Loop: Header=BB3_25 Depth=1
	v_add_nc_u64_e32 v[44:45], s[4:5], v[10:11]
	global_load_b64 v[66:67], v[44:45], off
.LBB3_29:                               ;   in Loop: Header=BB3_25 Depth=1
	s_wait_xcnt 0x0
	s_or_b32 exec_lo, exec_lo, s0
	v_add_nc_u64_e32 v[44:45], s[10:11], v[12:13]
	v_dual_mov_b32 v49, 0 :: v_dual_mov_b32 v56, 0
	v_mov_b32_e32 v57, 0
	s_delay_alu instid0(VALU_DEP_3)
	v_cmp_lt_u64_e64 s0, v[44:45], v[4:5]
	s_and_saveexec_b32 s1, s0
	s_cbranch_execz .LBB3_31
; %bb.30:                               ;   in Loop: Header=BB3_25 Depth=1
	v_add_nc_u64_e32 v[44:45], s[4:5], v[38:39]
	v_add_nc_u64_e32 v[46:47], s[4:5], v[36:37]
	global_load_b64 v[48:49], v[44:45], off
	global_load_b64 v[56:57], v[46:47], off
.LBB3_31:                               ;   in Loop: Header=BB3_25 Depth=1
	s_wait_xcnt 0x0
	s_or_b32 exec_lo, exec_lo, s1
	v_dual_mov_b32 v46, 0 :: v_dual_mov_b32 v64, 0
	v_mov_b32_e32 v65, 0
	s_and_saveexec_b32 s1, s0
	s_cbranch_execz .LBB3_33
; %bb.32:                               ;   in Loop: Header=BB3_25 Depth=1
	v_add_nc_u64_e32 v[44:45], s[4:5], v[40:41]
	global_load_b64 v[64:65], v[44:45], off
.LBB3_33:                               ;   in Loop: Header=BB3_25 Depth=1
	s_wait_xcnt 0x0
	s_or_b32 exec_lo, exec_lo, s1
	v_add_nc_u64_e32 v[44:45], s[10:11], v[18:19]
	v_dual_mov_b32 v47, 0 :: v_dual_mov_b32 v54, 0
	v_mov_b32_e32 v55, 0
	s_delay_alu instid0(VALU_DEP_3)
	v_cmp_lt_u64_e64 s1, v[44:45], v[4:5]
	s_and_saveexec_b32 s2, s1
	s_cbranch_execz .LBB3_35
; %bb.34:                               ;   in Loop: Header=BB3_25 Depth=1
	v_add_nc_u64_e32 v[44:45], s[4:5], v[22:23]
	v_add_nc_u64_e32 v[52:53], s[4:5], v[20:21]
	global_load_b64 v[46:47], v[44:45], off
	global_load_b64 v[54:55], v[52:53], off
.LBB3_35:                               ;   in Loop: Header=BB3_25 Depth=1
	s_wait_xcnt 0x0
	s_or_b32 exec_lo, exec_lo, s2
	v_dual_mov_b32 v44, 0 :: v_dual_mov_b32 v62, 0
	v_mov_b32_e32 v63, 0
	s_and_saveexec_b32 s2, s1
	s_cbranch_execz .LBB3_37
; %bb.36:                               ;   in Loop: Header=BB3_25 Depth=1
	v_add_nc_u64_e32 v[52:53], s[4:5], v[24:25]
	global_load_b64 v[62:63], v[52:53], off
.LBB3_37:                               ;   in Loop: Header=BB3_25 Depth=1
	s_wait_xcnt 0x0
	s_or_b32 exec_lo, exec_lo, s2
	v_add_nc_u64_e32 v[52:53], s[10:11], v[16:17]
	v_mov_b32_e32 v45, 0
	s_delay_alu instid0(VALU_DEP_2)
	v_cmp_lt_u64_e64 s2, v[52:53], v[4:5]
	v_dual_mov_b32 v52, 0 :: v_dual_mov_b32 v53, 0
	s_and_saveexec_b32 s3, s2
	s_cbranch_execz .LBB3_39
; %bb.38:                               ;   in Loop: Header=BB3_25 Depth=1
	v_add_nc_u64_e32 v[60:61], s[4:5], v[30:31]
	v_add_nc_u64_e32 v[68:69], s[4:5], v[28:29]
	global_load_b64 v[44:45], v[60:61], off
	global_load_b64 v[52:53], v[68:69], off
.LBB3_39:                               ;   in Loop: Header=BB3_25 Depth=1
	s_wait_xcnt 0x0
	s_or_b32 exec_lo, exec_lo, s3
	v_mov_b32_e32 v60, 0
	s_delay_alu instid0(VALU_DEP_1)
	v_mov_b32_e32 v61, v60
	s_and_saveexec_b32 s3, s2
	s_cbranch_execz .LBB3_41
; %bb.40:                               ;   in Loop: Header=BB3_25 Depth=1
	v_add_nc_u64_e32 v[60:61], s[4:5], v[32:33]
	global_load_b64 v[60:61], v[60:61], off
.LBB3_41:                               ;   in Loop: Header=BB3_25 Depth=1
	s_wait_xcnt 0x0
	s_or_b32 exec_lo, exec_lo, s3
	s_wait_loadcnt 0x0
	v_pk_mul_f32 v[68:69], v[66:67], v[66:67]
	v_pk_add_f32 v[70:71], v[58:59], v[50:51] neg_lo:[0,1] neg_hi:[0,1]
	s_delay_alu instid0(VALU_DEP_2) | instskip(NEXT) | instid1(VALU_DEP_1)
	v_add_f32_e32 v68, v69, v68
	v_cmp_ngt_f32_e64 s3, 0x3e800000, v68
                                        ; implicit-def: $vgpr68_vgpr69
	s_and_saveexec_b32 s12, s3
	s_delay_alu instid0(SALU_CYCLE_1)
	s_xor_b32 s3, exec_lo, s12
; %bb.42:                               ;   in Loop: Header=BB3_25 Depth=1
	v_pk_add_f32 v[50:51], v[66:67], 1.0 neg_lo:[1,0] neg_hi:[1,0]
	s_delay_alu instid0(VALU_DEP_1) | instskip(NEXT) | instid1(VALU_DEP_1)
	v_pk_mul_f32 v[66:67], v[70:71], v[50:51] op_sel:[1,1] op_sel_hi:[1,0]
	v_pk_fma_f32 v[68:69], v[70:71], v[50:51], v[66:67] op_sel_hi:[0,1,1]
	v_pk_fma_f32 v[50:51], v[70:71], v[50:51], v[66:67] neg_lo:[0,0,1] neg_hi:[0,0,1]
                                        ; implicit-def: $vgpr70_vgpr71
                                        ; implicit-def: $vgpr66_vgpr67
	s_delay_alu instid0(VALU_DEP_2) | instskip(NEXT) | instid1(VALU_DEP_1)
	v_mov_b32_e32 v51, v69
	v_pk_add_f32 v[68:69], v[58:59], v[50:51] neg_lo:[0,1] neg_hi:[0,1]
                                        ; implicit-def: $vgpr50_vgpr51
; %bb.43:                               ;   in Loop: Header=BB3_25 Depth=1
	s_and_not1_saveexec_b32 s3, s3
; %bb.44:                               ;   in Loop: Header=BB3_25 Depth=1
	v_pk_mul_f32 v[58:59], v[70:71], v[66:67] op_sel:[1,1] op_sel_hi:[1,0]
	s_delay_alu instid0(VALU_DEP_1) | instskip(SKIP_1) | instid1(VALU_DEP_2)
	v_pk_fma_f32 v[68:69], v[70:71], v[66:67], v[58:59] op_sel_hi:[0,1,1]
	v_pk_fma_f32 v[58:59], v[70:71], v[66:67], v[58:59] neg_lo:[0,0,1] neg_hi:[0,0,1]
	v_mov_b32_e32 v59, v69
	s_delay_alu instid0(VALU_DEP_1)
	v_pk_add_f32 v[68:69], v[50:51], v[58:59]
; %bb.45:                               ;   in Loop: Header=BB3_25 Depth=1
	s_or_b32 exec_lo, exec_lo, s3
	v_pk_mul_f32 v[50:51], v[64:65], v[64:65]
	v_pk_add_f32 v[58:59], v[56:57], v[48:49] neg_lo:[0,1] neg_hi:[0,1]
	s_delay_alu instid0(VALU_DEP_2) | instskip(NEXT) | instid1(VALU_DEP_1)
	v_add_f32_e32 v50, v51, v50
	v_cmp_ngt_f32_e64 s3, 0x3e800000, v50
                                        ; implicit-def: $vgpr50_vgpr51
	s_and_saveexec_b32 s12, s3
	s_delay_alu instid0(SALU_CYCLE_1)
	s_xor_b32 s3, exec_lo, s12
; %bb.46:                               ;   in Loop: Header=BB3_25 Depth=1
	v_pk_add_f32 v[48:49], v[64:65], 1.0 neg_lo:[1,0] neg_hi:[1,0]
	s_delay_alu instid0(VALU_DEP_1) | instskip(NEXT) | instid1(VALU_DEP_1)
	v_pk_mul_f32 v[50:51], v[58:59], v[48:49] op_sel:[1,1] op_sel_hi:[1,0]
	v_pk_fma_f32 v[64:65], v[58:59], v[48:49], v[50:51] op_sel_hi:[0,1,1]
	v_pk_fma_f32 v[48:49], v[58:59], v[48:49], v[50:51] neg_lo:[0,0,1] neg_hi:[0,0,1]
                                        ; implicit-def: $vgpr58_vgpr59
	s_delay_alu instid0(VALU_DEP_2) | instskip(NEXT) | instid1(VALU_DEP_1)
	v_mov_b32_e32 v49, v65
                                        ; implicit-def: $vgpr64_vgpr65
	v_pk_add_f32 v[50:51], v[56:57], v[48:49] neg_lo:[0,1] neg_hi:[0,1]
                                        ; implicit-def: $vgpr48_vgpr49
; %bb.47:                               ;   in Loop: Header=BB3_25 Depth=1
	s_and_not1_saveexec_b32 s3, s3
; %bb.48:                               ;   in Loop: Header=BB3_25 Depth=1
	v_pk_mul_f32 v[50:51], v[58:59], v[64:65] op_sel:[1,1] op_sel_hi:[1,0]
	s_delay_alu instid0(VALU_DEP_1) | instskip(SKIP_1) | instid1(VALU_DEP_2)
	v_pk_fma_f32 v[56:57], v[58:59], v[64:65], v[50:51] op_sel_hi:[0,1,1]
	v_pk_fma_f32 v[50:51], v[58:59], v[64:65], v[50:51] neg_lo:[0,0,1] neg_hi:[0,0,1]
	v_mov_b32_e32 v51, v57
	s_delay_alu instid0(VALU_DEP_1)
	v_pk_add_f32 v[50:51], v[48:49], v[50:51]
; %bb.49:                               ;   in Loop: Header=BB3_25 Depth=1
	s_or_b32 exec_lo, exec_lo, s3
	v_pk_mul_f32 v[48:49], v[62:63], v[62:63]
	v_pk_add_f32 v[56:57], v[54:55], v[46:47] neg_lo:[0,1] neg_hi:[0,1]
	s_delay_alu instid0(VALU_DEP_2) | instskip(NEXT) | instid1(VALU_DEP_1)
	v_add_f32_e32 v48, v49, v48
	v_cmp_ngt_f32_e64 s3, 0x3e800000, v48
                                        ; implicit-def: $vgpr48_vgpr49
	s_and_saveexec_b32 s12, s3
	s_delay_alu instid0(SALU_CYCLE_1)
	s_xor_b32 s3, exec_lo, s12
; %bb.50:                               ;   in Loop: Header=BB3_25 Depth=1
	v_pk_add_f32 v[46:47], v[62:63], 1.0 neg_lo:[1,0] neg_hi:[1,0]
                                        ; implicit-def: $vgpr62_vgpr63
	s_delay_alu instid0(VALU_DEP_1) | instskip(NEXT) | instid1(VALU_DEP_1)
	v_pk_mul_f32 v[48:49], v[56:57], v[46:47] op_sel:[1,1] op_sel_hi:[1,0]
	v_pk_fma_f32 v[58:59], v[56:57], v[46:47], v[48:49] op_sel_hi:[0,1,1]
	v_pk_fma_f32 v[46:47], v[56:57], v[46:47], v[48:49] neg_lo:[0,0,1] neg_hi:[0,0,1]
                                        ; implicit-def: $vgpr56_vgpr57
	s_delay_alu instid0(VALU_DEP_2) | instskip(NEXT) | instid1(VALU_DEP_1)
	v_mov_b32_e32 v47, v59
	v_pk_add_f32 v[48:49], v[54:55], v[46:47] neg_lo:[0,1] neg_hi:[0,1]
                                        ; implicit-def: $vgpr46_vgpr47
; %bb.51:                               ;   in Loop: Header=BB3_25 Depth=1
	s_and_not1_saveexec_b32 s3, s3
; %bb.52:                               ;   in Loop: Header=BB3_25 Depth=1
	v_pk_mul_f32 v[48:49], v[56:57], v[62:63] op_sel:[1,1] op_sel_hi:[1,0]
	s_delay_alu instid0(VALU_DEP_1) | instskip(SKIP_1) | instid1(VALU_DEP_2)
	v_pk_fma_f32 v[54:55], v[56:57], v[62:63], v[48:49] op_sel_hi:[0,1,1]
	v_pk_fma_f32 v[48:49], v[56:57], v[62:63], v[48:49] neg_lo:[0,0,1] neg_hi:[0,0,1]
	v_mov_b32_e32 v49, v55
	s_delay_alu instid0(VALU_DEP_1)
	v_pk_add_f32 v[48:49], v[46:47], v[48:49]
; %bb.53:                               ;   in Loop: Header=BB3_25 Depth=1
	s_or_b32 exec_lo, exec_lo, s3
	v_pk_mul_f32 v[46:47], v[60:61], v[60:61]
	v_pk_add_f32 v[54:55], v[52:53], v[44:45] neg_lo:[0,1] neg_hi:[0,1]
	s_delay_alu instid0(VALU_DEP_2) | instskip(NEXT) | instid1(VALU_DEP_1)
	v_add_f32_e32 v46, v47, v46
	v_cmp_ngt_f32_e64 s3, 0x3e800000, v46
                                        ; implicit-def: $vgpr46_vgpr47
	s_and_saveexec_b32 s12, s3
	s_delay_alu instid0(SALU_CYCLE_1)
	s_xor_b32 s3, exec_lo, s12
	s_cbranch_execnz .LBB3_59
; %bb.54:                               ;   in Loop: Header=BB3_25 Depth=1
	s_and_not1_saveexec_b32 s3, s3
	s_cbranch_execnz .LBB3_60
.LBB3_55:                               ;   in Loop: Header=BB3_25 Depth=1
	s_or_b32 exec_lo, exec_lo, s3
	s_and_saveexec_b32 s3, vcc_lo
	s_delay_alu instid0(SALU_CYCLE_1)
	s_xor_b32 s3, exec_lo, s3
	s_cbranch_execnz .LBB3_61
.LBB3_56:                               ;   in Loop: Header=BB3_25 Depth=1
	s_or_b32 exec_lo, exec_lo, s3
	s_and_saveexec_b32 s3, s0
	s_cbranch_execnz .LBB3_62
.LBB3_57:                               ;   in Loop: Header=BB3_25 Depth=1
	s_or_b32 exec_lo, exec_lo, s3
	s_and_saveexec_b32 s0, s1
	s_cbranch_execnz .LBB3_63
.LBB3_58:                               ;   in Loop: Header=BB3_25 Depth=1
	s_or_b32 exec_lo, exec_lo, s0
	s_and_saveexec_b32 s0, s2
	s_cbranch_execz .LBB3_24
	s_branch .LBB3_64
.LBB3_59:                               ;   in Loop: Header=BB3_25 Depth=1
	v_pk_add_f32 v[44:45], v[60:61], 1.0 neg_lo:[1,0] neg_hi:[1,0]
                                        ; implicit-def: $vgpr60_vgpr61
	s_delay_alu instid0(VALU_DEP_1) | instskip(NEXT) | instid1(VALU_DEP_1)
	v_pk_mul_f32 v[46:47], v[54:55], v[44:45] op_sel:[1,1] op_sel_hi:[1,0]
	v_pk_fma_f32 v[56:57], v[54:55], v[44:45], v[46:47] op_sel_hi:[0,1,1]
	v_pk_fma_f32 v[44:45], v[54:55], v[44:45], v[46:47] neg_lo:[0,0,1] neg_hi:[0,0,1]
                                        ; implicit-def: $vgpr54_vgpr55
	s_delay_alu instid0(VALU_DEP_2) | instskip(NEXT) | instid1(VALU_DEP_1)
	v_mov_b32_e32 v45, v57
	v_pk_add_f32 v[46:47], v[52:53], v[44:45] neg_lo:[0,1] neg_hi:[0,1]
                                        ; implicit-def: $vgpr44_vgpr45
	s_and_not1_saveexec_b32 s3, s3
	s_cbranch_execz .LBB3_55
.LBB3_60:                               ;   in Loop: Header=BB3_25 Depth=1
	v_pk_mul_f32 v[46:47], v[54:55], v[60:61] op_sel:[1,1] op_sel_hi:[1,0]
	s_delay_alu instid0(VALU_DEP_1) | instskip(SKIP_1) | instid1(VALU_DEP_2)
	v_pk_fma_f32 v[52:53], v[54:55], v[60:61], v[46:47] op_sel_hi:[0,1,1]
	v_pk_fma_f32 v[46:47], v[54:55], v[60:61], v[46:47] neg_lo:[0,0,1] neg_hi:[0,0,1]
	v_mov_b32_e32 v47, v53
	s_delay_alu instid0(VALU_DEP_1) | instskip(SKIP_2) | instid1(SALU_CYCLE_1)
	v_pk_add_f32 v[46:47], v[44:45], v[46:47]
	s_or_b32 exec_lo, exec_lo, s3
	s_and_saveexec_b32 s3, vcc_lo
	s_xor_b32 s3, exec_lo, s3
	s_cbranch_execz .LBB3_56
.LBB3_61:                               ;   in Loop: Header=BB3_25 Depth=1
	v_add_nc_u64_e32 v[44:45], s[4:5], v[14:15]
	global_store_b64 v[44:45], v[68:69], off
	s_wait_xcnt 0x0
	s_or_b32 exec_lo, exec_lo, s3
	s_and_saveexec_b32 s3, s0
	s_cbranch_execz .LBB3_57
.LBB3_62:                               ;   in Loop: Header=BB3_25 Depth=1
	v_add_nc_u64_e32 v[44:45], s[4:5], v[42:43]
	global_store_b64 v[44:45], v[50:51], off
	s_wait_xcnt 0x0
	s_or_b32 exec_lo, exec_lo, s3
	s_and_saveexec_b32 s0, s1
	s_cbranch_execz .LBB3_58
.LBB3_63:                               ;   in Loop: Header=BB3_25 Depth=1
	v_add_nc_u64_e32 v[44:45], s[4:5], v[26:27]
	global_store_b64 v[44:45], v[48:49], off
	s_wait_xcnt 0x0
	s_or_b32 exec_lo, exec_lo, s0
	s_and_saveexec_b32 s0, s2
	s_cbranch_execz .LBB3_24
.LBB3_64:                               ;   in Loop: Header=BB3_25 Depth=1
	v_add_nc_u64_e32 v[44:45], s[4:5], v[34:35]
	global_store_b64 v[44:45], v[46:47], off
	s_branch .LBB3_24
.LBB3_65:
	s_sendmsg sendmsg(MSG_DEALLOC_VGPRS)
	s_endpgm
	.section	.rodata,"a",@progbits
	.p2align	6, 0x0
	.amdhsa_kernel _ZN2at6native12_GLOBAL__N_125multi_tensor_apply_kernelINS1_18TensorListMetadataILi4EEENS1_20TernaryOpListFunctorIN3c107complexIfEELi4ELi3ELi3EEEJNS0_11LerpFunctorIS8_EEEEEvT_T0_DpT1_
		.amdhsa_group_segment_fixed_size 0
		.amdhsa_private_segment_fixed_size 0
		.amdhsa_kernarg_size 3312
		.amdhsa_user_sgpr_count 2
		.amdhsa_user_sgpr_dispatch_ptr 0
		.amdhsa_user_sgpr_queue_ptr 0
		.amdhsa_user_sgpr_kernarg_segment_ptr 1
		.amdhsa_user_sgpr_dispatch_id 0
		.amdhsa_user_sgpr_kernarg_preload_length 0
		.amdhsa_user_sgpr_kernarg_preload_offset 0
		.amdhsa_user_sgpr_private_segment_size 0
		.amdhsa_wavefront_size32 1
		.amdhsa_uses_dynamic_stack 0
		.amdhsa_enable_private_segment 0
		.amdhsa_system_sgpr_workgroup_id_x 1
		.amdhsa_system_sgpr_workgroup_id_y 0
		.amdhsa_system_sgpr_workgroup_id_z 0
		.amdhsa_system_sgpr_workgroup_info 0
		.amdhsa_system_vgpr_workitem_id 0
		.amdhsa_next_free_vgpr 72
		.amdhsa_next_free_sgpr 30
		.amdhsa_named_barrier_count 0
		.amdhsa_reserve_vcc 1
		.amdhsa_float_round_mode_32 0
		.amdhsa_float_round_mode_16_64 0
		.amdhsa_float_denorm_mode_32 3
		.amdhsa_float_denorm_mode_16_64 3
		.amdhsa_fp16_overflow 0
		.amdhsa_memory_ordered 1
		.amdhsa_forward_progress 1
		.amdhsa_inst_pref_size 22
		.amdhsa_round_robin_scheduling 0
		.amdhsa_exception_fp_ieee_invalid_op 0
		.amdhsa_exception_fp_denorm_src 0
		.amdhsa_exception_fp_ieee_div_zero 0
		.amdhsa_exception_fp_ieee_overflow 0
		.amdhsa_exception_fp_ieee_underflow 0
		.amdhsa_exception_fp_ieee_inexact 0
		.amdhsa_exception_int_div_zero 0
	.end_amdhsa_kernel
	.section	.text._ZN2at6native12_GLOBAL__N_125multi_tensor_apply_kernelINS1_18TensorListMetadataILi4EEENS1_20TernaryOpListFunctorIN3c107complexIfEELi4ELi3ELi3EEEJNS0_11LerpFunctorIS8_EEEEEvT_T0_DpT1_,"axG",@progbits,_ZN2at6native12_GLOBAL__N_125multi_tensor_apply_kernelINS1_18TensorListMetadataILi4EEENS1_20TernaryOpListFunctorIN3c107complexIfEELi4ELi3ELi3EEEJNS0_11LerpFunctorIS8_EEEEEvT_T0_DpT1_,comdat
.Lfunc_end3:
	.size	_ZN2at6native12_GLOBAL__N_125multi_tensor_apply_kernelINS1_18TensorListMetadataILi4EEENS1_20TernaryOpListFunctorIN3c107complexIfEELi4ELi3ELi3EEEJNS0_11LerpFunctorIS8_EEEEEvT_T0_DpT1_, .Lfunc_end3-_ZN2at6native12_GLOBAL__N_125multi_tensor_apply_kernelINS1_18TensorListMetadataILi4EEENS1_20TernaryOpListFunctorIN3c107complexIfEELi4ELi3ELi3EEEJNS0_11LerpFunctorIS8_EEEEEvT_T0_DpT1_
                                        ; -- End function
	.set _ZN2at6native12_GLOBAL__N_125multi_tensor_apply_kernelINS1_18TensorListMetadataILi4EEENS1_20TernaryOpListFunctorIN3c107complexIfEELi4ELi3ELi3EEEJNS0_11LerpFunctorIS8_EEEEEvT_T0_DpT1_.num_vgpr, 72
	.set _ZN2at6native12_GLOBAL__N_125multi_tensor_apply_kernelINS1_18TensorListMetadataILi4EEENS1_20TernaryOpListFunctorIN3c107complexIfEELi4ELi3ELi3EEEJNS0_11LerpFunctorIS8_EEEEEvT_T0_DpT1_.num_agpr, 0
	.set _ZN2at6native12_GLOBAL__N_125multi_tensor_apply_kernelINS1_18TensorListMetadataILi4EEENS1_20TernaryOpListFunctorIN3c107complexIfEELi4ELi3ELi3EEEJNS0_11LerpFunctorIS8_EEEEEvT_T0_DpT1_.numbered_sgpr, 30
	.set _ZN2at6native12_GLOBAL__N_125multi_tensor_apply_kernelINS1_18TensorListMetadataILi4EEENS1_20TernaryOpListFunctorIN3c107complexIfEELi4ELi3ELi3EEEJNS0_11LerpFunctorIS8_EEEEEvT_T0_DpT1_.num_named_barrier, 0
	.set _ZN2at6native12_GLOBAL__N_125multi_tensor_apply_kernelINS1_18TensorListMetadataILi4EEENS1_20TernaryOpListFunctorIN3c107complexIfEELi4ELi3ELi3EEEJNS0_11LerpFunctorIS8_EEEEEvT_T0_DpT1_.private_seg_size, 0
	.set _ZN2at6native12_GLOBAL__N_125multi_tensor_apply_kernelINS1_18TensorListMetadataILi4EEENS1_20TernaryOpListFunctorIN3c107complexIfEELi4ELi3ELi3EEEJNS0_11LerpFunctorIS8_EEEEEvT_T0_DpT1_.uses_vcc, 1
	.set _ZN2at6native12_GLOBAL__N_125multi_tensor_apply_kernelINS1_18TensorListMetadataILi4EEENS1_20TernaryOpListFunctorIN3c107complexIfEELi4ELi3ELi3EEEJNS0_11LerpFunctorIS8_EEEEEvT_T0_DpT1_.uses_flat_scratch, 0
	.set _ZN2at6native12_GLOBAL__N_125multi_tensor_apply_kernelINS1_18TensorListMetadataILi4EEENS1_20TernaryOpListFunctorIN3c107complexIfEELi4ELi3ELi3EEEJNS0_11LerpFunctorIS8_EEEEEvT_T0_DpT1_.has_dyn_sized_stack, 0
	.set _ZN2at6native12_GLOBAL__N_125multi_tensor_apply_kernelINS1_18TensorListMetadataILi4EEENS1_20TernaryOpListFunctorIN3c107complexIfEELi4ELi3ELi3EEEJNS0_11LerpFunctorIS8_EEEEEvT_T0_DpT1_.has_recursion, 0
	.set _ZN2at6native12_GLOBAL__N_125multi_tensor_apply_kernelINS1_18TensorListMetadataILi4EEENS1_20TernaryOpListFunctorIN3c107complexIfEELi4ELi3ELi3EEEJNS0_11LerpFunctorIS8_EEEEEvT_T0_DpT1_.has_indirect_call, 0
	.section	.AMDGPU.csdata,"",@progbits
; Kernel info:
; codeLenInByte = 2776
; TotalNumSgprs: 32
; NumVgprs: 72
; ScratchSize: 0
; MemoryBound: 1
; FloatMode: 240
; IeeeMode: 1
; LDSByteSize: 0 bytes/workgroup (compile time only)
; SGPRBlocks: 0
; VGPRBlocks: 4
; NumSGPRsForWavesPerEU: 32
; NumVGPRsForWavesPerEU: 72
; NamedBarCnt: 0
; Occupancy: 12
; WaveLimiterHint : 0
; COMPUTE_PGM_RSRC2:SCRATCH_EN: 0
; COMPUTE_PGM_RSRC2:USER_SGPR: 2
; COMPUTE_PGM_RSRC2:TRAP_HANDLER: 0
; COMPUTE_PGM_RSRC2:TGID_X_EN: 1
; COMPUTE_PGM_RSRC2:TGID_Y_EN: 0
; COMPUTE_PGM_RSRC2:TGID_Z_EN: 0
; COMPUTE_PGM_RSRC2:TIDIG_COMP_CNT: 0
	.section	.text._ZN2at6native12_GLOBAL__N_125multi_tensor_apply_kernelINS1_18TensorListMetadataILi4EEENS1_20TernaryOpListFunctorIN3c104HalfELi4ELi3ELi3EEEJNS0_11LerpFunctorIfEEEEEvT_T0_DpT1_,"axG",@progbits,_ZN2at6native12_GLOBAL__N_125multi_tensor_apply_kernelINS1_18TensorListMetadataILi4EEENS1_20TernaryOpListFunctorIN3c104HalfELi4ELi3ELi3EEEJNS0_11LerpFunctorIfEEEEEvT_T0_DpT1_,comdat
	.globl	_ZN2at6native12_GLOBAL__N_125multi_tensor_apply_kernelINS1_18TensorListMetadataILi4EEENS1_20TernaryOpListFunctorIN3c104HalfELi4ELi3ELi3EEEJNS0_11LerpFunctorIfEEEEEvT_T0_DpT1_ ; -- Begin function _ZN2at6native12_GLOBAL__N_125multi_tensor_apply_kernelINS1_18TensorListMetadataILi4EEENS1_20TernaryOpListFunctorIN3c104HalfELi4ELi3ELi3EEEJNS0_11LerpFunctorIfEEEEEvT_T0_DpT1_
	.p2align	8
	.type	_ZN2at6native12_GLOBAL__N_125multi_tensor_apply_kernelINS1_18TensorListMetadataILi4EEENS1_20TernaryOpListFunctorIN3c104HalfELi4ELi3ELi3EEEJNS0_11LerpFunctorIfEEEEEvT_T0_DpT1_,@function
_ZN2at6native12_GLOBAL__N_125multi_tensor_apply_kernelINS1_18TensorListMetadataILi4EEENS1_20TernaryOpListFunctorIN3c104HalfELi4ELi3ELi3EEEJNS0_11LerpFunctorIfEEEEEvT_T0_DpT1_: ; @_ZN2at6native12_GLOBAL__N_125multi_tensor_apply_kernelINS1_18TensorListMetadataILi4EEENS1_20TernaryOpListFunctorIN3c104HalfELi4ELi3ELi3EEEJNS0_11LerpFunctorIfEEEEEvT_T0_DpT1_
; %bb.0:
	s_bfe_u32 s2, ttmp6, 0x4000c
	s_and_b32 s3, ttmp6, 15
	s_add_co_i32 s2, s2, 1
	s_getreg_b32 s4, hwreg(HW_REG_IB_STS2, 6, 4)
	s_mul_i32 s2, ttmp9, s2
	s_delay_alu instid0(SALU_CYCLE_1)
	s_add_co_i32 s3, s3, s2
	s_cmp_eq_u32 s4, 0
	s_cselect_b32 s2, ttmp9, s3
	s_mov_b32 s3, 0
	s_load_u8 s17, s[0:1], s2 offset:0x5a0
	s_add_nc_u64 s[4:5], s[0:1], s[2:3]
	s_mul_u64 s[6:7], s[2:3], 3
	s_delay_alu instid0(SALU_CYCLE_1)
	s_add_nc_u64 s[4:5], s[4:5], s[6:7]
	s_load_b32 s16, s[4:5], 0x6e0
	s_wait_kmcnt 0x0
	s_clause 0x4
	s_load_b64 s[8:9], s[0:1], s17 offset:0x120 scale_offset
	s_load_b64 s[10:11], s[0:1], s17 offset:0x0 scale_offset
	;; [unrolled: 1-line block ×5, first 2 shown]
	s_wait_xcnt 0x0
	s_ashr_i32 s17, s16, 31
	s_delay_alu instid0(SALU_CYCLE_1)
	s_lshl_b64 s[6:7], s[16:17], 17
	s_wait_kmcnt 0x0
	s_add_nc_u64 s[4:5], s[8:9], s[6:7]
	s_add_nc_u64 s[20:21], s[12:13], s[6:7]
	s_and_b32 s2, s4, 7
	s_and_b64 s[4:5], s[10:11], 7
	s_cmp_lg_u64 s[2:3], 0
	s_cselect_b32 s21, -1, 0
	s_or_b32 s2, s14, s20
	s_delay_alu instid0(SALU_CYCLE_1) | instskip(NEXT) | instid1(SALU_CYCLE_1)
	s_and_b32 s2, s2, 7
	s_cmp_lg_u32 s2, 0
	s_cselect_b32 s20, -1, 0
	s_and_b32 s2, s18, 3
	s_lshl_b64 s[16:17], s[16:17], 16
	s_or_b64 s[2:3], s[4:5], s[2:3]
	s_or_b32 s4, s20, s21
	s_cmp_lg_u64 s[2:3], 0
	s_sub_nc_u64 s[16:17], s[18:19], s[16:17]
	s_cselect_b32 s2, -1, 0
	s_delay_alu instid0(SALU_CYCLE_1) | instskip(NEXT) | instid1(SALU_CYCLE_1)
	s_or_b32 s2, s4, s2
	s_and_not1_b32 vcc_lo, exec_lo, s2
	s_mov_b32 s2, -1
	s_cbranch_vccz .LBB4_5
; %bb.1:
	v_min_i64 v[2:3], 0x10000, s[16:17]
	v_dual_mov_b32 v5, 0 :: v_dual_lshlrev_b32 v4, 2, v0
	s_mov_b32 s5, exec_lo
	s_delay_alu instid0(VALU_DEP_1)
	v_cmpx_lt_i64_e64 v[4:5], v[2:3]
	s_cbranch_execz .LBB4_4
; %bb.2:
	s_load_b32 s2, s[0:1], 0xbfc
	v_dual_mov_b32 v1, v5 :: v_dual_lshlrev_b32 v4, 3, v0
	s_mov_b32 s19, 0
	s_delay_alu instid0(SALU_CYCLE_1) | instskip(NEXT) | instid1(VALU_DEP_1)
	s_mov_b32 s21, s19
	v_add_nc_u64_e32 v[4:5], s[6:7], v[4:5]
	s_delay_alu instid0(VALU_DEP_2) | instskip(SKIP_3) | instid1(SALU_CYCLE_1)
	v_mov_b64_e32 v[6:7], v[0:1]
	s_mov_b32 s22, s19
	s_wait_kmcnt 0x0
	s_and_b32 s18, s2, 0xffff
	s_lshl_b32 s20, s18, 3
.LBB4_3:                                ; =>This Inner Loop Header: Depth=1
	s_delay_alu instid0(VALU_DEP_2)
	v_add_nc_u64_e32 v[8:9], s[10:11], v[4:5]
	v_add_nc_u64_e32 v[10:11], s[8:9], v[4:5]
	;; [unrolled: 1-line block ×4, first 2 shown]
	global_load_b64 v[14:15], v[8:9], off
	global_load_b64 v[16:17], v[10:11], off
	;; [unrolled: 1-line block ×3, first 2 shown]
	s_wait_xcnt 0x2
	v_lshlrev_b64_e32 v[8:9], 2, v[6:7]
	s_wait_loadcnt 0x2
	s_wait_xcnt 0x0
	v_dual_lshrrev_b32 v1, 16, v15 :: v_dual_lshrrev_b32 v13, 16, v14
	v_cvt_f32_f16_e32 v10, v15
	v_cvt_f32_f16_e32 v12, v14
	s_wait_loadcnt 0x1
	v_lshrrev_b32_e32 v15, 16, v17
	v_cvt_f32_f16_e32 v14, v17
	v_lshrrev_b32_e32 v17, 16, v16
	v_cvt_f32_f16_e32 v16, v16
	s_wait_loadcnt 0x0
	v_dual_lshrrev_b32 v21, 16, v18 :: v_dual_lshrrev_b32 v22, 16, v19
	v_cvt_f32_f16_e32 v11, v1
	v_cvt_f32_f16_e32 v13, v13
	;; [unrolled: 1-line block ×8, first 2 shown]
	v_dual_sub_f32 v22, v16, v12 :: v_dual_sub_f32 v24, v14, v10
	v_dual_sub_f32 v23, v17, v13 :: v_dual_sub_f32 v25, v15, v11
	v_dual_sub_f32 v26, 1.0, v18 :: v_dual_sub_f32 v28, 1.0, v20
	s_delay_alu instid0(VALU_DEP_4) | instskip(NEXT) | instid1(VALU_DEP_4)
	v_dual_sub_f32 v27, 1.0, v19 :: v_dual_sub_f32 v29, 1.0, v21
	v_xor_b32_e32 v30, 0x80000000, v24
	v_xor_b32_e32 v32, 0x80000000, v22
	;; [unrolled: 1-line block ×4, first 2 shown]
	v_pk_fma_f32 v[10:11], v[24:25], v[20:21], v[10:11]
	v_pk_fma_f32 v[12:13], v[22:23], v[18:19], v[12:13]
	v_cmp_lt_f32_e64 vcc_lo, |v20|, 0.5
	v_pk_fma_f32 v[14:15], v[30:31], v[28:29], v[14:15]
	v_pk_fma_f32 v[16:17], v[32:33], v[26:27], v[16:17]
	v_cmp_lt_f32_e64 s2, |v21|, 0.5
	v_cmp_lt_f32_e64 s3, |v18|, 0.5
	;; [unrolled: 1-line block ×3, first 2 shown]
	v_cndmask_b32_e32 v10, v14, v10, vcc_lo
	v_cmp_ge_i64_e32 vcc_lo, v[8:9], v[2:3]
	s_delay_alu instid0(VALU_DEP_4) | instskip(NEXT) | instid1(VALU_DEP_4)
	v_dual_cndmask_b32 v11, v15, v11, s2 :: v_dual_cndmask_b32 v12, v16, v12, s3
	v_cndmask_b32_e64 v1, v17, v13, s4
	v_add_nc_u64_e32 v[8:9], s[14:15], v[4:5]
	v_add_nc_u64_e32 v[4:5], s[20:21], v[4:5]
	s_delay_alu instid0(VALU_DEP_4)
	v_cvt_pk_f16_f32 v11, v10, v11
	s_or_b32 s22, vcc_lo, s22
	v_cvt_pk_f16_f32 v10, v12, v1
	global_store_b64 v[8:9], v[10:11], off
	s_wait_xcnt 0x0
	s_and_not1_b32 exec_lo, exec_lo, s22
	s_cbranch_execnz .LBB4_3
.LBB4_4:
	s_or_b32 exec_lo, exec_lo, s5
	s_mov_b32 s2, 0
.LBB4_5:
	s_delay_alu instid0(SALU_CYCLE_1)
	s_and_not1_b32 vcc_lo, exec_lo, s2
	s_cbranch_vccnz .LBB4_33
; %bb.6:
	v_cmp_lt_i64_e64 s2, s[16:17], 1
	s_and_b32 vcc_lo, exec_lo, s2
	s_cbranch_vccnz .LBB4_33
; %bb.7:
	s_load_b32 s0, s[0:1], 0xbfc
	v_min_i64 v[2:3], 0x10000, s[16:17]
	v_min_u64 v[4:5], 0x10000, s[16:17]
	v_dual_mov_b32 v1, 0 :: v_dual_lshlrev_b32 v14, 1, v0
	s_wait_xcnt 0x0
	s_mov_b32 s1, 0
	v_mov_b32_e32 v45, 1.0
	s_mov_b32 s5, s1
	v_dual_mov_b32 v15, v1 :: v_dual_mov_b32 v43, v1
	s_mov_b32 s3, s1
	s_mov_b32 s17, s1
	s_delay_alu instid0(VALU_DEP_1) | instskip(SKIP_4) | instid1(SALU_CYCLE_1)
	v_add_nc_u64_e32 v[6:7], s[10:11], v[14:15]
	v_add_nc_u64_e32 v[8:9], s[8:9], v[14:15]
	v_add_nc_u64_e32 v[10:11], s[12:13], v[14:15]
	s_wait_kmcnt 0x0
	s_and_b32 s0, s0, 0xffff
	v_add_nc_u64_e32 v[12:13], s[0:1], v[0:1]
	v_mad_nc_u64_u32 v[34:35], s0, 6, v[14:15]
	s_lshl_b32 s4, s0, 2
	s_mul_i32 s16, s0, 3
	v_add_nc_u64_e32 v[26:27], s[4:5], v[14:15]
	s_lshl_b32 s2, s0, 1
	v_add_nc_u64_e32 v[14:15], s[14:15], v[14:15]
	v_lshlrev_b32_e32 v42, 1, v12
	v_add_nc_u64_e32 v[16:17], s[16:17], v[0:1]
	v_add_nc_u64_e32 v[18:19], s[2:3], v[0:1]
	;; [unrolled: 1-line block ×14, first 2 shown]
	s_lshl_b32 s8, s0, 3
	s_mov_b32 s9, s1
	s_mov_b64 s[10:11], 0
	s_branch .LBB4_9
.LBB4_8:                                ;   in Loop: Header=BB4_9 Depth=1
	s_wait_xcnt 0x0
	s_or_b32 exec_lo, exec_lo, s0
	s_add_nc_u64 s[10:11], s[10:11], s[4:5]
	v_add_nc_u64_e32 v[6:7], s[8:9], v[6:7]
	v_cmp_ge_i64_e32 vcc_lo, s[10:11], v[2:3]
	v_add_nc_u64_e32 v[8:9], s[8:9], v[8:9]
	v_add_nc_u64_e32 v[10:11], s[8:9], v[10:11]
	;; [unrolled: 1-line block ×15, first 2 shown]
	s_cbranch_vccnz .LBB4_33
.LBB4_9:                                ; =>This Inner Loop Header: Depth=1
	v_add_nc_u64_e32 v[46:47], s[10:11], v[0:1]
	v_mov_b32_e32 v44, 0
	s_delay_alu instid0(VALU_DEP_2)
	v_cmp_lt_u64_e32 vcc_lo, v[46:47], v[4:5]
	v_mov_b32_e32 v46, 0
	s_and_saveexec_b32 s0, vcc_lo
	s_cbranch_execz .LBB4_11
; %bb.10:                               ;   in Loop: Header=BB4_9 Depth=1
	v_add_nc_u64_e32 v[46:47], s[6:7], v[6:7]
	v_add_nc_u64_e32 v[48:49], s[6:7], v[8:9]
	global_load_u16 v44, v[46:47], off
	global_load_u16 v50, v[48:49], off
	s_wait_loadcnt 0x1
	s_wait_xcnt 0x1
	v_cvt_f32_f16_e32 v46, v44
	s_wait_loadcnt 0x0
	v_cvt_f32_f16_e32 v44, v50
.LBB4_11:                               ;   in Loop: Header=BB4_9 Depth=1
	s_wait_xcnt 0x0
	s_or_b32 exec_lo, exec_lo, s0
	v_dual_mov_b32 v48, 0 :: v_dual_mov_b32 v47, 0
	s_and_saveexec_b32 s0, vcc_lo
	s_cbranch_execz .LBB4_13
; %bb.12:                               ;   in Loop: Header=BB4_9 Depth=1
	v_add_nc_u64_e32 v[50:51], s[6:7], v[10:11]
	global_load_u16 v47, v[50:51], off
	s_wait_loadcnt 0x0
	v_cvt_f32_f16_e32 v47, v47
.LBB4_13:                               ;   in Loop: Header=BB4_9 Depth=1
	s_wait_xcnt 0x0
	s_or_b32 exec_lo, exec_lo, s0
	v_add_nc_u64_e32 v[50:51], s[10:11], v[12:13]
	v_mov_b32_e32 v49, 0
	s_delay_alu instid0(VALU_DEP_2)
	v_cmp_lt_u64_e64 s0, v[50:51], v[4:5]
	s_and_saveexec_b32 s1, s0
	s_cbranch_execz .LBB4_15
; %bb.14:                               ;   in Loop: Header=BB4_9 Depth=1
	v_add_nc_u64_e32 v[48:49], s[6:7], v[36:37]
	v_add_nc_u64_e32 v[50:51], s[6:7], v[38:39]
	global_load_u16 v52, v[48:49], off
	global_load_u16 v53, v[50:51], off
	s_wait_loadcnt 0x1
	s_wait_xcnt 0x1
	v_cvt_f32_f16_e32 v49, v52
	s_wait_loadcnt 0x0
	v_cvt_f32_f16_e32 v48, v53
.LBB4_15:                               ;   in Loop: Header=BB4_9 Depth=1
	s_wait_xcnt 0x0
	s_or_b32 exec_lo, exec_lo, s1
	v_dual_mov_b32 v50, 0 :: v_dual_mov_b32 v51, 0
	s_and_saveexec_b32 s1, s0
	s_cbranch_execz .LBB4_17
; %bb.16:                               ;   in Loop: Header=BB4_9 Depth=1
	v_add_nc_u64_e32 v[52:53], s[6:7], v[40:41]
	global_load_u16 v51, v[52:53], off
	s_wait_loadcnt 0x0
	v_cvt_f32_f16_e32 v51, v51
.LBB4_17:                               ;   in Loop: Header=BB4_9 Depth=1
	s_wait_xcnt 0x0
	s_or_b32 exec_lo, exec_lo, s1
	v_add_nc_u64_e32 v[52:53], s[10:11], v[18:19]
	s_delay_alu instid0(VALU_DEP_1)
	v_cmp_lt_u64_e64 s1, v[52:53], v[4:5]
	v_mov_b32_e32 v52, 0
	s_and_saveexec_b32 s2, s1
	s_cbranch_execz .LBB4_19
; %bb.18:                               ;   in Loop: Header=BB4_9 Depth=1
	v_add_nc_u64_e32 v[52:53], s[6:7], v[20:21]
	v_add_nc_u64_e32 v[54:55], s[6:7], v[22:23]
	global_load_u16 v50, v[52:53], off
	global_load_u16 v56, v[54:55], off
	s_wait_loadcnt 0x1
	s_wait_xcnt 0x1
	v_cvt_f32_f16_e32 v52, v50
	s_wait_loadcnt 0x0
	v_cvt_f32_f16_e32 v50, v56
.LBB4_19:                               ;   in Loop: Header=BB4_9 Depth=1
	s_wait_xcnt 0x0
	s_or_b32 exec_lo, exec_lo, s2
	v_dual_mov_b32 v53, 0 :: v_dual_mov_b32 v54, 0
	s_and_saveexec_b32 s2, s1
	s_cbranch_execz .LBB4_21
; %bb.20:                               ;   in Loop: Header=BB4_9 Depth=1
	v_add_nc_u64_e32 v[54:55], s[6:7], v[24:25]
	global_load_u16 v54, v[54:55], off
	s_wait_loadcnt 0x0
	v_cvt_f32_f16_e32 v54, v54
.LBB4_21:                               ;   in Loop: Header=BB4_9 Depth=1
	s_or_b32 exec_lo, exec_lo, s2
	v_add_nc_u64_e32 v[56:57], s[10:11], v[16:17]
	v_mov_b32_e32 v55, 0
	s_delay_alu instid0(VALU_DEP_2)
	v_cmp_lt_u64_e64 s2, v[56:57], v[4:5]
	s_and_saveexec_b32 s3, s2
	s_cbranch_execnz .LBB4_27
; %bb.22:                               ;   in Loop: Header=BB4_9 Depth=1
	s_or_b32 exec_lo, exec_lo, s3
	v_mov_b32_e32 v56, 0
	s_and_saveexec_b32 s3, s2
	s_cbranch_execnz .LBB4_28
.LBB4_23:                               ;   in Loop: Header=BB4_9 Depth=1
	s_or_b32 exec_lo, exec_lo, s3
	s_and_saveexec_b32 s3, vcc_lo
	s_cbranch_execnz .LBB4_29
.LBB4_24:                               ;   in Loop: Header=BB4_9 Depth=1
	s_or_b32 exec_lo, exec_lo, s3
	s_and_saveexec_b32 s3, s0
	s_cbranch_execnz .LBB4_30
.LBB4_25:                               ;   in Loop: Header=BB4_9 Depth=1
	s_or_b32 exec_lo, exec_lo, s3
	s_and_saveexec_b32 s0, s1
	s_cbranch_execnz .LBB4_31
.LBB4_26:                               ;   in Loop: Header=BB4_9 Depth=1
	s_or_b32 exec_lo, exec_lo, s0
	s_and_saveexec_b32 s0, s2
	s_cbranch_execz .LBB4_8
	s_branch .LBB4_32
.LBB4_27:                               ;   in Loop: Header=BB4_9 Depth=1
	v_add_nc_u64_e32 v[56:57], s[6:7], v[28:29]
	v_add_nc_u64_e32 v[58:59], s[6:7], v[30:31]
	global_load_u16 v53, v[56:57], off
	global_load_u16 v60, v[58:59], off
	s_wait_loadcnt 0x1
	v_cvt_f32_f16_e32 v55, v53
	s_wait_loadcnt 0x0
	v_cvt_f32_f16_e32 v53, v60
	s_wait_xcnt 0x0
	s_or_b32 exec_lo, exec_lo, s3
	v_mov_b32_e32 v56, 0
	s_and_saveexec_b32 s3, s2
	s_cbranch_execz .LBB4_23
.LBB4_28:                               ;   in Loop: Header=BB4_9 Depth=1
	v_add_nc_u64_e32 v[56:57], s[6:7], v[32:33]
	global_load_u16 v56, v[56:57], off
	s_wait_loadcnt 0x0
	v_cvt_f32_f16_e32 v56, v56
	s_or_b32 exec_lo, exec_lo, s3
	s_and_saveexec_b32 s3, vcc_lo
	s_cbranch_execz .LBB4_24
.LBB4_29:                               ;   in Loop: Header=BB4_9 Depth=1
	v_pk_add_f32 v[58:59], v[44:45], v[46:47] neg_lo:[0,1] neg_hi:[0,1]
	v_cmp_lt_f32_e64 vcc_lo, |v47|, 0.5
	s_delay_alu instid0(VALU_DEP_2) | instskip(NEXT) | instid1(VALU_DEP_3)
	v_fmac_f32_e32 v46, v58, v47
	v_fma_f32 v44, -v58, v59, v44
	s_delay_alu instid0(VALU_DEP_1) | instskip(SKIP_1) | instid1(VALU_DEP_2)
	v_cndmask_b32_e32 v44, v44, v46, vcc_lo
	v_add_nc_u64_e32 v[46:47], s[6:7], v[14:15]
	v_cvt_f16_f32_e32 v44, v44
	global_store_b16 v[46:47], v44, off
	s_wait_xcnt 0x0
	s_or_b32 exec_lo, exec_lo, s3
	s_and_saveexec_b32 s3, s0
	s_cbranch_execz .LBB4_25
.LBB4_30:                               ;   in Loop: Header=BB4_9 Depth=1
	v_dual_sub_f32 v44, v48, v49 :: v_dual_sub_f32 v46, 1.0, v51
	v_cmp_lt_f32_e64 vcc_lo, |v51|, 0.5
	s_delay_alu instid0(VALU_DEP_2) | instskip(SKIP_1) | instid1(VALU_DEP_2)
	v_dual_fmac_f32 v49, v44, v51 :: v_dual_fma_f32 v44, -v44, v46, v48
	v_add_nc_u64_e32 v[46:47], s[6:7], v[42:43]
	v_cndmask_b32_e32 v44, v44, v49, vcc_lo
	s_delay_alu instid0(VALU_DEP_1)
	v_cvt_f16_f32_e32 v44, v44
	global_store_b16 v[46:47], v44, off
	s_wait_xcnt 0x0
	s_or_b32 exec_lo, exec_lo, s3
	s_and_saveexec_b32 s0, s1
	s_cbranch_execz .LBB4_26
.LBB4_31:                               ;   in Loop: Header=BB4_9 Depth=1
	v_dual_sub_f32 v44, v50, v52 :: v_dual_sub_f32 v46, 1.0, v54
	v_cmp_lt_f32_e64 vcc_lo, |v54|, 0.5
	s_delay_alu instid0(VALU_DEP_2) | instskip(NEXT) | instid1(VALU_DEP_3)
	v_fmac_f32_e32 v52, v44, v54
	v_fma_f32 v44, -v44, v46, v50
	v_add_nc_u64_e32 v[46:47], s[6:7], v[26:27]
	s_delay_alu instid0(VALU_DEP_2) | instskip(NEXT) | instid1(VALU_DEP_1)
	v_cndmask_b32_e32 v44, v44, v52, vcc_lo
	v_cvt_f16_f32_e32 v44, v44
	global_store_b16 v[46:47], v44, off
	s_wait_xcnt 0x0
	s_or_b32 exec_lo, exec_lo, s0
	s_and_saveexec_b32 s0, s2
	s_cbranch_execz .LBB4_8
.LBB4_32:                               ;   in Loop: Header=BB4_9 Depth=1
	v_dual_sub_f32 v44, v53, v55 :: v_dual_sub_f32 v46, 1.0, v56
	v_cmp_lt_f32_e64 vcc_lo, |v56|, 0.5
	s_delay_alu instid0(VALU_DEP_2) | instskip(SKIP_1) | instid1(VALU_DEP_2)
	v_dual_fmac_f32 v55, v44, v56 :: v_dual_fma_f32 v44, -v44, v46, v53
	v_add_nc_u64_e32 v[46:47], s[6:7], v[34:35]
	v_cndmask_b32_e32 v44, v44, v55, vcc_lo
	s_delay_alu instid0(VALU_DEP_1)
	v_cvt_f16_f32_e32 v44, v44
	global_store_b16 v[46:47], v44, off
	s_branch .LBB4_8
.LBB4_33:
	s_endpgm
	.section	.rodata,"a",@progbits
	.p2align	6, 0x0
	.amdhsa_kernel _ZN2at6native12_GLOBAL__N_125multi_tensor_apply_kernelINS1_18TensorListMetadataILi4EEENS1_20TernaryOpListFunctorIN3c104HalfELi4ELi3ELi3EEEJNS0_11LerpFunctorIfEEEEEvT_T0_DpT1_
		.amdhsa_group_segment_fixed_size 0
		.amdhsa_private_segment_fixed_size 0
		.amdhsa_kernarg_size 3312
		.amdhsa_user_sgpr_count 2
		.amdhsa_user_sgpr_dispatch_ptr 0
		.amdhsa_user_sgpr_queue_ptr 0
		.amdhsa_user_sgpr_kernarg_segment_ptr 1
		.amdhsa_user_sgpr_dispatch_id 0
		.amdhsa_user_sgpr_kernarg_preload_length 0
		.amdhsa_user_sgpr_kernarg_preload_offset 0
		.amdhsa_user_sgpr_private_segment_size 0
		.amdhsa_wavefront_size32 1
		.amdhsa_uses_dynamic_stack 0
		.amdhsa_enable_private_segment 0
		.amdhsa_system_sgpr_workgroup_id_x 1
		.amdhsa_system_sgpr_workgroup_id_y 0
		.amdhsa_system_sgpr_workgroup_id_z 0
		.amdhsa_system_sgpr_workgroup_info 0
		.amdhsa_system_vgpr_workitem_id 0
		.amdhsa_next_free_vgpr 61
		.amdhsa_next_free_sgpr 23
		.amdhsa_named_barrier_count 0
		.amdhsa_reserve_vcc 1
		.amdhsa_float_round_mode_32 0
		.amdhsa_float_round_mode_16_64 0
		.amdhsa_float_denorm_mode_32 3
		.amdhsa_float_denorm_mode_16_64 3
		.amdhsa_fp16_overflow 0
		.amdhsa_memory_ordered 1
		.amdhsa_forward_progress 1
		.amdhsa_inst_pref_size 16
		.amdhsa_round_robin_scheduling 0
		.amdhsa_exception_fp_ieee_invalid_op 0
		.amdhsa_exception_fp_denorm_src 0
		.amdhsa_exception_fp_ieee_div_zero 0
		.amdhsa_exception_fp_ieee_overflow 0
		.amdhsa_exception_fp_ieee_underflow 0
		.amdhsa_exception_fp_ieee_inexact 0
		.amdhsa_exception_int_div_zero 0
	.end_amdhsa_kernel
	.section	.text._ZN2at6native12_GLOBAL__N_125multi_tensor_apply_kernelINS1_18TensorListMetadataILi4EEENS1_20TernaryOpListFunctorIN3c104HalfELi4ELi3ELi3EEEJNS0_11LerpFunctorIfEEEEEvT_T0_DpT1_,"axG",@progbits,_ZN2at6native12_GLOBAL__N_125multi_tensor_apply_kernelINS1_18TensorListMetadataILi4EEENS1_20TernaryOpListFunctorIN3c104HalfELi4ELi3ELi3EEEJNS0_11LerpFunctorIfEEEEEvT_T0_DpT1_,comdat
.Lfunc_end4:
	.size	_ZN2at6native12_GLOBAL__N_125multi_tensor_apply_kernelINS1_18TensorListMetadataILi4EEENS1_20TernaryOpListFunctorIN3c104HalfELi4ELi3ELi3EEEJNS0_11LerpFunctorIfEEEEEvT_T0_DpT1_, .Lfunc_end4-_ZN2at6native12_GLOBAL__N_125multi_tensor_apply_kernelINS1_18TensorListMetadataILi4EEENS1_20TernaryOpListFunctorIN3c104HalfELi4ELi3ELi3EEEJNS0_11LerpFunctorIfEEEEEvT_T0_DpT1_
                                        ; -- End function
	.set _ZN2at6native12_GLOBAL__N_125multi_tensor_apply_kernelINS1_18TensorListMetadataILi4EEENS1_20TernaryOpListFunctorIN3c104HalfELi4ELi3ELi3EEEJNS0_11LerpFunctorIfEEEEEvT_T0_DpT1_.num_vgpr, 61
	.set _ZN2at6native12_GLOBAL__N_125multi_tensor_apply_kernelINS1_18TensorListMetadataILi4EEENS1_20TernaryOpListFunctorIN3c104HalfELi4ELi3ELi3EEEJNS0_11LerpFunctorIfEEEEEvT_T0_DpT1_.num_agpr, 0
	.set _ZN2at6native12_GLOBAL__N_125multi_tensor_apply_kernelINS1_18TensorListMetadataILi4EEENS1_20TernaryOpListFunctorIN3c104HalfELi4ELi3ELi3EEEJNS0_11LerpFunctorIfEEEEEvT_T0_DpT1_.numbered_sgpr, 23
	.set _ZN2at6native12_GLOBAL__N_125multi_tensor_apply_kernelINS1_18TensorListMetadataILi4EEENS1_20TernaryOpListFunctorIN3c104HalfELi4ELi3ELi3EEEJNS0_11LerpFunctorIfEEEEEvT_T0_DpT1_.num_named_barrier, 0
	.set _ZN2at6native12_GLOBAL__N_125multi_tensor_apply_kernelINS1_18TensorListMetadataILi4EEENS1_20TernaryOpListFunctorIN3c104HalfELi4ELi3ELi3EEEJNS0_11LerpFunctorIfEEEEEvT_T0_DpT1_.private_seg_size, 0
	.set _ZN2at6native12_GLOBAL__N_125multi_tensor_apply_kernelINS1_18TensorListMetadataILi4EEENS1_20TernaryOpListFunctorIN3c104HalfELi4ELi3ELi3EEEJNS0_11LerpFunctorIfEEEEEvT_T0_DpT1_.uses_vcc, 1
	.set _ZN2at6native12_GLOBAL__N_125multi_tensor_apply_kernelINS1_18TensorListMetadataILi4EEENS1_20TernaryOpListFunctorIN3c104HalfELi4ELi3ELi3EEEJNS0_11LerpFunctorIfEEEEEvT_T0_DpT1_.uses_flat_scratch, 0
	.set _ZN2at6native12_GLOBAL__N_125multi_tensor_apply_kernelINS1_18TensorListMetadataILi4EEENS1_20TernaryOpListFunctorIN3c104HalfELi4ELi3ELi3EEEJNS0_11LerpFunctorIfEEEEEvT_T0_DpT1_.has_dyn_sized_stack, 0
	.set _ZN2at6native12_GLOBAL__N_125multi_tensor_apply_kernelINS1_18TensorListMetadataILi4EEENS1_20TernaryOpListFunctorIN3c104HalfELi4ELi3ELi3EEEJNS0_11LerpFunctorIfEEEEEvT_T0_DpT1_.has_recursion, 0
	.set _ZN2at6native12_GLOBAL__N_125multi_tensor_apply_kernelINS1_18TensorListMetadataILi4EEENS1_20TernaryOpListFunctorIN3c104HalfELi4ELi3ELi3EEEJNS0_11LerpFunctorIfEEEEEvT_T0_DpT1_.has_indirect_call, 0
	.section	.AMDGPU.csdata,"",@progbits
; Kernel info:
; codeLenInByte = 1976
; TotalNumSgprs: 25
; NumVgprs: 61
; ScratchSize: 0
; MemoryBound: 0
; FloatMode: 240
; IeeeMode: 1
; LDSByteSize: 0 bytes/workgroup (compile time only)
; SGPRBlocks: 0
; VGPRBlocks: 3
; NumSGPRsForWavesPerEU: 25
; NumVGPRsForWavesPerEU: 61
; NamedBarCnt: 0
; Occupancy: 16
; WaveLimiterHint : 0
; COMPUTE_PGM_RSRC2:SCRATCH_EN: 0
; COMPUTE_PGM_RSRC2:USER_SGPR: 2
; COMPUTE_PGM_RSRC2:TRAP_HANDLER: 0
; COMPUTE_PGM_RSRC2:TGID_X_EN: 1
; COMPUTE_PGM_RSRC2:TGID_Y_EN: 0
; COMPUTE_PGM_RSRC2:TGID_Z_EN: 0
; COMPUTE_PGM_RSRC2:TIDIG_COMP_CNT: 0
	.section	.text._ZN2at6native12_GLOBAL__N_125multi_tensor_apply_kernelINS1_18TensorListMetadataILi4EEENS1_20TernaryOpListFunctorIN3c108BFloat16ELi4ELi3ELi3EEEJNS0_11LerpFunctorIfEEEEEvT_T0_DpT1_,"axG",@progbits,_ZN2at6native12_GLOBAL__N_125multi_tensor_apply_kernelINS1_18TensorListMetadataILi4EEENS1_20TernaryOpListFunctorIN3c108BFloat16ELi4ELi3ELi3EEEJNS0_11LerpFunctorIfEEEEEvT_T0_DpT1_,comdat
	.globl	_ZN2at6native12_GLOBAL__N_125multi_tensor_apply_kernelINS1_18TensorListMetadataILi4EEENS1_20TernaryOpListFunctorIN3c108BFloat16ELi4ELi3ELi3EEEJNS0_11LerpFunctorIfEEEEEvT_T0_DpT1_ ; -- Begin function _ZN2at6native12_GLOBAL__N_125multi_tensor_apply_kernelINS1_18TensorListMetadataILi4EEENS1_20TernaryOpListFunctorIN3c108BFloat16ELi4ELi3ELi3EEEJNS0_11LerpFunctorIfEEEEEvT_T0_DpT1_
	.p2align	8
	.type	_ZN2at6native12_GLOBAL__N_125multi_tensor_apply_kernelINS1_18TensorListMetadataILi4EEENS1_20TernaryOpListFunctorIN3c108BFloat16ELi4ELi3ELi3EEEJNS0_11LerpFunctorIfEEEEEvT_T0_DpT1_,@function
_ZN2at6native12_GLOBAL__N_125multi_tensor_apply_kernelINS1_18TensorListMetadataILi4EEENS1_20TernaryOpListFunctorIN3c108BFloat16ELi4ELi3ELi3EEEJNS0_11LerpFunctorIfEEEEEvT_T0_DpT1_: ; @_ZN2at6native12_GLOBAL__N_125multi_tensor_apply_kernelINS1_18TensorListMetadataILi4EEENS1_20TernaryOpListFunctorIN3c108BFloat16ELi4ELi3ELi3EEEJNS0_11LerpFunctorIfEEEEEvT_T0_DpT1_
; %bb.0:
	s_bfe_u32 s2, ttmp6, 0x4000c
	s_and_b32 s3, ttmp6, 15
	s_add_co_i32 s2, s2, 1
	s_getreg_b32 s4, hwreg(HW_REG_IB_STS2, 6, 4)
	s_mul_i32 s2, ttmp9, s2
	s_delay_alu instid0(SALU_CYCLE_1)
	s_add_co_i32 s3, s3, s2
	s_cmp_eq_u32 s4, 0
	s_cselect_b32 s2, ttmp9, s3
	s_mov_b32 s3, 0
	s_load_u8 s18, s[0:1], s2 offset:0x5a0
	s_add_nc_u64 s[4:5], s[0:1], s[2:3]
	s_mul_u64 s[6:7], s[2:3], 3
	s_delay_alu instid0(SALU_CYCLE_1)
	s_add_nc_u64 s[4:5], s[4:5], s[6:7]
	s_load_b32 s6, s[4:5], 0x6e0
	s_wait_kmcnt 0x0
	s_clause 0x4
	s_load_b64 s[8:9], s[0:1], s18 offset:0x120 scale_offset
	s_load_b64 s[10:11], s[0:1], s18 offset:0x0 scale_offset
	;; [unrolled: 1-line block ×5, first 2 shown]
	s_ashr_i32 s7, s6, 31
	s_delay_alu instid0(SALU_CYCLE_1)
	s_lshl_b64 s[4:5], s[6:7], 17
	s_wait_kmcnt 0x0
	s_add_nc_u64 s[18:19], s[8:9], s[4:5]
	s_add_nc_u64 s[20:21], s[12:13], s[4:5]
	s_and_b32 s2, s18, 7
	s_and_b64 s[18:19], s[10:11], 7
	s_cmp_lg_u64 s[2:3], 0
	s_cselect_b32 s21, -1, 0
	s_or_b32 s2, s14, s20
	s_delay_alu instid0(SALU_CYCLE_1) | instskip(NEXT) | instid1(SALU_CYCLE_1)
	s_and_b32 s2, s2, 7
	s_cmp_lg_u32 s2, 0
	s_cselect_b32 s20, -1, 0
	s_and_b32 s2, s16, 3
	s_lshl_b64 s[6:7], s[6:7], 16
	s_or_b64 s[2:3], s[18:19], s[2:3]
	s_or_b32 s18, s20, s21
	s_cmp_lg_u64 s[2:3], 0
	s_sub_nc_u64 s[16:17], s[16:17], s[6:7]
	s_cselect_b32 s2, -1, 0
	s_delay_alu instid0(SALU_CYCLE_1) | instskip(NEXT) | instid1(SALU_CYCLE_1)
	s_or_b32 s2, s18, s2
	s_and_not1_b32 vcc_lo, exec_lo, s2
	s_mov_b32 s2, -1
	s_cbranch_vccz .LBB5_5
; %bb.1:
	v_min_i64 v[2:3], 0x10000, s[16:17]
	v_dual_mov_b32 v5, 0 :: v_dual_lshlrev_b32 v4, 2, v0
	s_mov_b32 s20, exec_lo
	s_delay_alu instid0(VALU_DEP_1)
	v_cmpx_lt_i64_e64 v[4:5], v[2:3]
	s_cbranch_execz .LBB5_4
; %bb.2:
	s_load_b32 s2, s[0:1], 0xbfc
	v_dual_mov_b32 v1, v5 :: v_dual_lshlrev_b32 v4, 3, v0
	s_mov_b32 s7, 0
	s_delay_alu instid0(SALU_CYCLE_1) | instskip(NEXT) | instid1(VALU_DEP_1)
	s_mov_b32 s19, s7
	v_add_nc_u64_e32 v[4:5], s[4:5], v[4:5]
	s_delay_alu instid0(VALU_DEP_2) | instskip(SKIP_3) | instid1(SALU_CYCLE_1)
	v_mov_b64_e32 v[6:7], v[0:1]
	s_mov_b32 s21, s7
	s_wait_kmcnt 0x0
	s_and_b32 s6, s2, 0xffff
	s_lshl_b32 s18, s6, 3
.LBB5_3:                                ; =>This Inner Loop Header: Depth=1
	s_delay_alu instid0(VALU_DEP_2)
	v_add_nc_u64_e32 v[8:9], s[10:11], v[4:5]
	v_add_nc_u64_e32 v[10:11], s[8:9], v[4:5]
	;; [unrolled: 1-line block ×4, first 2 shown]
	global_load_b64 v[14:15], v[8:9], off
	global_load_b64 v[16:17], v[10:11], off
	;; [unrolled: 1-line block ×3, first 2 shown]
	s_wait_xcnt 0x2
	v_lshlrev_b64_e32 v[8:9], 2, v[6:7]
	s_wait_loadcnt 0x1
	s_wait_xcnt 0x1
	v_dual_lshlrev_b32 v1, 16, v14 :: v_dual_lshlrev_b32 v10, 16, v16
	s_wait_loadcnt 0x0
	v_lshlrev_b32_e32 v11, 16, v18
	s_wait_xcnt 0x0
	v_and_b32_e32 v12, 0xffff0000, v14
	v_and_b32_e32 v13, 0xffff0000, v16
	v_and_b32_e32 v20, 0xffff0000, v18
	v_alignbit_b32 v21, v15, v14, 16
	v_alignbit_b32 v22, v17, v16, 16
	;; [unrolled: 1-line block ×3, first 2 shown]
	v_dual_sub_f32 v1, v10, v1 :: v_dual_sub_f32 v10, 1.0, v11
	v_sub_f32_e32 v12, v13, v12
	v_and_b32_e32 v24, 0xffff0000, v15
	v_and_b32_e32 v25, 0xffff0000, v17
	;; [unrolled: 1-line block ×3, first 2 shown]
	v_sub_f32_e32 v13, 1.0, v20
	v_and_b32_e32 v27, 0xffff0000, v21
	v_and_b32_e32 v28, 0xffff0000, v22
	;; [unrolled: 1-line block ×3, first 2 shown]
	v_fma_mix_f32_bf16 v30, v1, v18, v14 op_sel_hi:[0,1,1]
	v_fma_mix_f32_bf16 v1, -v1, v10, v16 op_sel_hi:[0,0,1]
	v_cmp_lt_f32_e64 s3, |v11|, 0.5
	v_dual_sub_f32 v24, v25, v24 :: v_dual_sub_f32 v25, 1.0, v26
	v_fma_mix_f32_bf16 v10, v12, v18, v14 op_sel:[0,1,1] op_sel_hi:[0,1,1]
	v_fma_mix_f32_bf16 v12, -v12, v13, v16 op_sel:[0,0,1] op_sel_hi:[0,0,1]
	v_cmp_lt_f32_e64 vcc_lo, |v20|, 0.5
	v_dual_sub_f32 v13, v28, v27 :: v_dual_sub_f32 v14, 1.0, v29
	v_cndmask_b32_e64 v1, v1, v30, s3
	v_fma_mix_f32_bf16 v15, v24, v19, v15 op_sel:[0,1,1] op_sel_hi:[0,1,1]
	v_fma_mix_f32_bf16 v16, -v24, v25, v17 op_sel:[0,0,1] op_sel_hi:[0,0,1]
	v_cmp_lt_f32_e64 s2, |v26|, 0.5
	v_fma_mix_f32_bf16 v11, v13, v23, v21 op_sel:[0,1,1] op_sel_hi:[0,1,1]
	v_cndmask_b32_e32 v10, v12, v10, vcc_lo
	v_fma_mix_f32_bf16 v12, -v13, v14, v22 op_sel:[0,0,1] op_sel_hi:[0,0,1]
	v_cmp_lt_f32_e64 vcc_lo, |v29|, 0.5
	v_bfe_u32 v14, v1, 16, 1
	s_delay_alu instid0(VALU_DEP_3) | instskip(NEXT) | instid1(VALU_DEP_2)
	v_cndmask_b32_e32 v11, v12, v11, vcc_lo
	v_add3_u32 v14, v1, v14, 0x7fff
	v_cndmask_b32_e64 v13, v16, v15, s2
	v_bfe_u32 v15, v10, 16, 1
	v_cmp_o_f32_e32 vcc_lo, v10, v10
	v_bfe_u32 v16, v11, 16, 1
	v_lshrrev_b32_e32 v14, 16, v14
	v_bfe_u32 v12, v13, 16, 1
	v_add3_u32 v15, v10, v15, 0x7fff
	v_cmp_o_f32_e64 s2, v1, v1
	v_add3_u32 v16, v11, v16, 0x7fff
	s_delay_alu instid0(VALU_DEP_4) | instskip(NEXT) | instid1(VALU_DEP_4)
	v_add3_u32 v12, v13, v12, 0x7fff
	v_and_b32_e32 v15, 0xffff0000, v15
	s_delay_alu instid0(VALU_DEP_4) | instskip(NEXT) | instid1(VALU_DEP_3)
	v_cndmask_b32_e64 v1, 0x7fc0, v14, s2
	v_and_b32_e32 v10, 0xffff0000, v12
	s_delay_alu instid0(VALU_DEP_3) | instskip(SKIP_1) | instid1(VALU_DEP_2)
	v_cndmask_b32_e32 v14, 0x7fc00000, v15, vcc_lo
	v_cmp_o_f32_e32 vcc_lo, v13, v13
	v_dual_lshrrev_b32 v12, 16, v16 :: v_dual_bitop2_b32 v1, v1, v14 bitop3:0x54
	s_delay_alu instid0(VALU_DEP_4) | instskip(SKIP_1) | instid1(VALU_DEP_3)
	v_cndmask_b32_e32 v10, 0x7fc00000, v10, vcc_lo
	v_cmp_o_f32_e32 vcc_lo, v11, v11
	v_cndmask_b32_e32 v11, 0x7fc0, v12, vcc_lo
	v_cmp_ge_i64_e32 vcc_lo, v[8:9], v[2:3]
	v_add_nc_u64_e32 v[8:9], s[14:15], v[4:5]
	v_add_nc_u64_e32 v[4:5], s[18:19], v[4:5]
	s_delay_alu instid0(VALU_DEP_4)
	v_or3_b32 v11, 0, v11, v10
	v_or3_b32 v10, v1, 0, 0
	s_or_b32 s21, vcc_lo, s21
	global_store_b64 v[8:9], v[10:11], off
	s_wait_xcnt 0x0
	s_and_not1_b32 exec_lo, exec_lo, s21
	s_cbranch_execnz .LBB5_3
.LBB5_4:
	s_or_b32 exec_lo, exec_lo, s20
	s_mov_b32 s2, 0
.LBB5_5:
	s_delay_alu instid0(SALU_CYCLE_1)
	s_and_not1_b32 vcc_lo, exec_lo, s2
	s_cbranch_vccnz .LBB5_33
; %bb.6:
	v_cmp_lt_i64_e64 s2, s[16:17], 1
	s_and_b32 vcc_lo, exec_lo, s2
	s_cbranch_vccnz .LBB5_33
; %bb.7:
	s_load_b32 s0, s[0:1], 0xbfc
	v_min_i64 v[2:3], 0x10000, s[16:17]
	v_min_u64 v[6:7], 0x10000, s[16:17]
	v_dual_mov_b32 v4, 0 :: v_dual_lshlrev_b32 v16, 1, v0
	s_mov_b32 s7, 0
	v_mov_b32_e32 v47, 1.0
	s_wait_xcnt 0x0
	s_mov_b32 s1, s7
	v_dual_mov_b32 v17, v4 :: v_dual_mov_b32 v1, v4
	s_mov_b32 s3, s7
	s_mov_b32 s17, s7
	s_delay_alu instid0(VALU_DEP_1) | instskip(SKIP_4) | instid1(SALU_CYCLE_1)
	v_add_nc_u64_e32 v[8:9], s[10:11], v[16:17]
	v_add_nc_u64_e32 v[10:11], s[8:9], v[16:17]
	;; [unrolled: 1-line block ×3, first 2 shown]
	s_wait_kmcnt 0x0
	s_and_b32 s0, s0, 0xffff
	v_add_nc_u64_e32 v[14:15], s[0:1], v[0:1]
	v_mad_nc_u64_u32 v[36:37], s0, 6, v[16:17]
	s_lshl_b32 s6, s0, 2
	v_mov_b32_e32 v45, v4
	v_add_nc_u64_e32 v[28:29], s[6:7], v[16:17]
	s_mul_i32 s16, s0, 3
	s_lshl_b32 s2, s0, 1
	v_lshlrev_b32_e32 v44, 1, v14
	v_add_nc_u64_e32 v[16:17], s[14:15], v[16:17]
	v_add_nc_u64_e32 v[18:19], s[16:17], v[0:1]
	;; [unrolled: 1-line block ×15, first 2 shown]
	s_lshl_b32 s8, s0, 3
	s_mov_b32 s9, s7
	s_mov_b64 s[10:11], 0
	s_branch .LBB5_9
.LBB5_8:                                ;   in Loop: Header=BB5_9 Depth=1
	s_wait_xcnt 0x0
	s_or_b32 exec_lo, exec_lo, s0
	s_add_nc_u64 s[10:11], s[10:11], s[6:7]
	v_add_nc_u64_e32 v[8:9], s[8:9], v[8:9]
	v_cmp_ge_i64_e32 vcc_lo, s[10:11], v[2:3]
	v_add_nc_u64_e32 v[10:11], s[8:9], v[10:11]
	v_add_nc_u64_e32 v[12:13], s[8:9], v[12:13]
	;; [unrolled: 1-line block ×15, first 2 shown]
	s_cbranch_vccnz .LBB5_33
.LBB5_9:                                ; =>This Inner Loop Header: Depth=1
	v_add_nc_u64_e32 v[52:53], s[10:11], v[0:1]
	v_mov_b64_e32 v[48:49], 0
	v_mov_b64_e32 v[50:51], 0
	s_delay_alu instid0(VALU_DEP_3)
	v_cmp_lt_u64_e32 vcc_lo, v[52:53], v[6:7]
	v_mov_b64_e32 v[52:53], 0
	s_and_saveexec_b32 s0, vcc_lo
	s_cbranch_execz .LBB5_11
; %bb.10:                               ;   in Loop: Header=BB5_9 Depth=1
	v_add_nc_u64_e32 v[50:51], s[4:5], v[8:9]
	v_add_nc_u64_e32 v[52:53], s[4:5], v[10:11]
	global_load_u16 v5, v[50:51], off
	global_load_u16 v46, v[52:53], off
	s_wait_xcnt 0x0
	v_dual_mov_b32 v53, s7 :: v_dual_mov_b32 v51, s7
	s_wait_loadcnt 0x1
	v_and_b32_e32 v52, 0xffff, v5
	s_wait_loadcnt 0x0
	v_and_b32_e32 v50, 0xffff, v46
.LBB5_11:                               ;   in Loop: Header=BB5_9 Depth=1
	s_or_b32 exec_lo, exec_lo, s0
	s_and_saveexec_b32 s0, vcc_lo
	s_cbranch_execz .LBB5_13
; %bb.12:                               ;   in Loop: Header=BB5_9 Depth=1
	v_add_nc_u64_e32 v[48:49], s[4:5], v[12:13]
	global_load_u16 v5, v[48:49], off
	s_wait_xcnt 0x0
	v_mov_b32_e32 v49, s7
	s_wait_loadcnt 0x0
	v_and_b32_e32 v48, 0xffff, v5
.LBB5_13:                               ;   in Loop: Header=BB5_9 Depth=1
	s_or_b32 exec_lo, exec_lo, s0
	v_add_nc_u64_e32 v[54:55], s[10:11], v[14:15]
	s_delay_alu instid0(VALU_DEP_1)
	v_cmp_lt_u64_e64 s0, v[54:55], v[6:7]
	s_and_saveexec_b32 s1, s0
	s_cbranch_execz .LBB5_15
; %bb.14:                               ;   in Loop: Header=BB5_9 Depth=1
	v_add_nc_u64_e32 v[54:55], s[4:5], v[38:39]
	v_add_nc_u64_e32 v[56:57], s[4:5], v[40:41]
	global_load_u16 v5, v[54:55], off
	global_load_u16 v46, v[56:57], off
	s_wait_loadcnt 0x1
	v_lshl_or_b32 v52, v5, 16, v52
	s_wait_loadcnt 0x0
	v_lshl_or_b32 v50, v46, 16, v50
.LBB5_15:                               ;   in Loop: Header=BB5_9 Depth=1
	s_wait_xcnt 0x0
	s_or_b32 exec_lo, exec_lo, s1
	s_and_saveexec_b32 s1, s0
	s_cbranch_execz .LBB5_17
; %bb.16:                               ;   in Loop: Header=BB5_9 Depth=1
	v_add_nc_u64_e32 v[54:55], s[4:5], v[42:43]
	global_load_u16 v5, v[54:55], off
	s_wait_loadcnt 0x0
	v_lshl_or_b32 v48, v5, 16, v48
.LBB5_17:                               ;   in Loop: Header=BB5_9 Depth=1
	s_wait_xcnt 0x0
	s_or_b32 exec_lo, exec_lo, s1
	v_add_nc_u64_e32 v[54:55], s[10:11], v[20:21]
	s_delay_alu instid0(VALU_DEP_1) | instskip(SKIP_2) | instid1(SALU_CYCLE_1)
	v_cmp_lt_u64_e64 s1, v[54:55], v[6:7]
	v_cmp_ge_u64_e64 s2, v[54:55], v[6:7]
	s_and_saveexec_b32 s3, s2
	s_xor_b32 s2, exec_lo, s3
	s_delay_alu instid0(SALU_CYCLE_1)
	s_and_not1_saveexec_b32 s2, s2
	s_cbranch_execz .LBB5_19
; %bb.18:                               ;   in Loop: Header=BB5_9 Depth=1
	v_add_nc_u64_e32 v[54:55], s[4:5], v[22:23]
	v_add_nc_u64_e32 v[56:57], s[4:5], v[24:25]
	global_load_u16 v5, v[54:55], off
	global_load_u16 v46, v[56:57], off
	s_wait_loadcnt 0x1
	v_or_b32_e32 v53, v5, v53
	s_wait_loadcnt 0x0
	v_or_b32_e32 v51, v46, v51
.LBB5_19:                               ;   in Loop: Header=BB5_9 Depth=1
	s_wait_xcnt 0x0
	s_or_b32 exec_lo, exec_lo, s2
	s_and_saveexec_b32 s2, s1
	s_cbranch_execz .LBB5_21
; %bb.20:                               ;   in Loop: Header=BB5_9 Depth=1
	v_add_nc_u64_e32 v[54:55], s[4:5], v[26:27]
	global_load_u16 v5, v[54:55], off
	s_wait_loadcnt 0x0
	v_or_b32_e32 v49, v5, v49
.LBB5_21:                               ;   in Loop: Header=BB5_9 Depth=1
	s_wait_xcnt 0x0
	s_or_b32 exec_lo, exec_lo, s2
	v_add_nc_u64_e32 v[54:55], s[10:11], v[18:19]
	s_delay_alu instid0(VALU_DEP_1)
	v_cmp_lt_u64_e64 s2, v[54:55], v[6:7]
	s_and_saveexec_b32 s3, s2
	s_cbranch_execnz .LBB5_27
; %bb.22:                               ;   in Loop: Header=BB5_9 Depth=1
	s_or_b32 exec_lo, exec_lo, s3
	s_and_saveexec_b32 s3, s2
	s_cbranch_execnz .LBB5_28
.LBB5_23:                               ;   in Loop: Header=BB5_9 Depth=1
	s_or_b32 exec_lo, exec_lo, s3
	s_and_saveexec_b32 s3, vcc_lo
	s_cbranch_execnz .LBB5_29
.LBB5_24:                               ;   in Loop: Header=BB5_9 Depth=1
	s_or_b32 exec_lo, exec_lo, s3
	s_and_saveexec_b32 s3, s0
	s_cbranch_execnz .LBB5_30
.LBB5_25:                               ;   in Loop: Header=BB5_9 Depth=1
	s_or_b32 exec_lo, exec_lo, s3
	s_and_saveexec_b32 s0, s1
	s_cbranch_execnz .LBB5_31
.LBB5_26:                               ;   in Loop: Header=BB5_9 Depth=1
	s_or_b32 exec_lo, exec_lo, s0
	s_and_saveexec_b32 s0, s2
	s_cbranch_execz .LBB5_8
	s_branch .LBB5_32
.LBB5_27:                               ;   in Loop: Header=BB5_9 Depth=1
	v_add_nc_u64_e32 v[54:55], s[4:5], v[32:33]
	v_add_nc_u64_e32 v[56:57], s[4:5], v[30:31]
	global_load_u16 v5, v[54:55], off
	global_load_u16 v46, v[56:57], off
	s_wait_loadcnt 0x0
	v_dual_lshlrev_b32 v5, 16, v5 :: v_dual_lshlrev_b32 v46, 16, v46
	s_delay_alu instid0(VALU_DEP_1) | instskip(NEXT) | instid1(VALU_DEP_2)
	v_add_nc_u64_e32 v[50:51], v[4:5], v[50:51]
	v_or_b32_e32 v53, v46, v53
	s_wait_xcnt 0x0
	s_or_b32 exec_lo, exec_lo, s3
	s_and_saveexec_b32 s3, s2
	s_cbranch_execz .LBB5_23
.LBB5_28:                               ;   in Loop: Header=BB5_9 Depth=1
	v_add_nc_u64_e32 v[54:55], s[4:5], v[34:35]
	global_load_u16 v5, v[54:55], off
	s_wait_loadcnt 0x0
	v_lshlrev_b32_e32 v5, 16, v5
	s_delay_alu instid0(VALU_DEP_1)
	v_or_b32_e32 v49, v5, v49
	s_wait_xcnt 0x0
	s_or_b32 exec_lo, exec_lo, s3
	s_and_saveexec_b32 s3, vcc_lo
	s_cbranch_execz .LBB5_24
.LBB5_29:                               ;   in Loop: Header=BB5_9 Depth=1
	v_dual_lshlrev_b32 v55, 16, v48 :: v_dual_lshlrev_b32 v46, 16, v50
	s_delay_alu instid0(VALU_DEP_1) | instskip(SKIP_1) | instid1(VALU_DEP_1)
	v_cmp_lt_f32_e64 vcc_lo, |v55|, 0.5
	v_lshlrev_b32_e32 v54, 16, v52
	v_pk_add_f32 v[56:57], v[46:47], v[54:55] neg_lo:[0,1] neg_hi:[0,1]
	v_add_nc_u64_e32 v[54:55], s[4:5], v[16:17]
	s_delay_alu instid0(VALU_DEP_2) | instskip(NEXT) | instid1(VALU_DEP_3)
	v_fma_mix_f32_bf16 v5, v56, v48, v52 op_sel_hi:[0,1,1]
	v_fma_mix_f32_bf16 v46, -v56, v57, v50 op_sel_hi:[0,0,1]
	s_delay_alu instid0(VALU_DEP_1) | instskip(NEXT) | instid1(VALU_DEP_1)
	v_cndmask_b32_e32 v5, v46, v5, vcc_lo
	v_bfe_u32 v46, v5, 16, 1
	v_cmp_o_f32_e32 vcc_lo, v5, v5
	s_delay_alu instid0(VALU_DEP_2) | instskip(NEXT) | instid1(VALU_DEP_1)
	v_add3_u32 v46, v5, v46, 0x7fff
	v_lshrrev_b32_e32 v46, 16, v46
	s_delay_alu instid0(VALU_DEP_1)
	v_cndmask_b32_e32 v5, 0x7fc0, v46, vcc_lo
	global_store_b16 v[54:55], v5, off
	s_wait_xcnt 0x0
	s_or_b32 exec_lo, exec_lo, s3
	s_and_saveexec_b32 s3, s0
	s_cbranch_execz .LBB5_25
.LBB5_30:                               ;   in Loop: Header=BB5_9 Depth=1
	v_and_b32_e32 v46, 0xffff0000, v50
	v_and_b32_e32 v55, 0xffff0000, v48
	;; [unrolled: 1-line block ×3, first 2 shown]
	s_delay_alu instid0(VALU_DEP_2) | instskip(NEXT) | instid1(VALU_DEP_2)
	v_cmp_lt_f32_e64 vcc_lo, |v55|, 0.5
	v_pk_add_f32 v[56:57], v[46:47], v[54:55] neg_lo:[0,1] neg_hi:[0,1]
	s_delay_alu instid0(VALU_DEP_1) | instskip(NEXT) | instid1(VALU_DEP_2)
	v_fmac_f32_e32 v54, v56, v55
	v_fma_mix_f32_bf16 v5, -v56, v57, v50 op_sel:[0,0,1] op_sel_hi:[0,0,1]
	s_delay_alu instid0(VALU_DEP_1) | instskip(SKIP_1) | instid1(VALU_DEP_2)
	v_cndmask_b32_e32 v5, v5, v54, vcc_lo
	v_add_nc_u64_e32 v[54:55], s[4:5], v[44:45]
	v_bfe_u32 v46, v5, 16, 1
	v_cmp_o_f32_e32 vcc_lo, v5, v5
	s_delay_alu instid0(VALU_DEP_2) | instskip(NEXT) | instid1(VALU_DEP_1)
	v_add3_u32 v46, v5, v46, 0x7fff
	v_lshrrev_b32_e32 v46, 16, v46
	s_delay_alu instid0(VALU_DEP_1)
	v_cndmask_b32_e32 v5, 0x7fc0, v46, vcc_lo
	global_store_b16 v[54:55], v5, off
	s_wait_xcnt 0x0
	s_or_b32 exec_lo, exec_lo, s3
	s_and_saveexec_b32 s0, s1
	s_cbranch_execz .LBB5_26
.LBB5_31:                               ;   in Loop: Header=BB5_9 Depth=1
	v_alignbit_b32 v5, v51, v50, 16
	v_alignbit_b32 v48, v49, v48, 16
	;; [unrolled: 1-line block ×3, first 2 shown]
	s_delay_alu instid0(VALU_DEP_3) | instskip(NEXT) | instid1(VALU_DEP_3)
	v_and_b32_e32 v46, 0xffff0000, v5
	v_and_b32_e32 v55, 0xffff0000, v48
	s_delay_alu instid0(VALU_DEP_3) | instskip(NEXT) | instid1(VALU_DEP_2)
	v_and_b32_e32 v54, 0xffff0000, v50
	v_cmp_lt_f32_e64 vcc_lo, |v55|, 0.5
	s_delay_alu instid0(VALU_DEP_2) | instskip(NEXT) | instid1(VALU_DEP_1)
	v_pk_add_f32 v[56:57], v[46:47], v[54:55] neg_lo:[0,1] neg_hi:[0,1]
	v_fmac_f32_e32 v54, v56, v55
	s_delay_alu instid0(VALU_DEP_2) | instskip(NEXT) | instid1(VALU_DEP_1)
	v_fma_mix_f32_bf16 v5, -v56, v57, v5 op_sel:[0,0,1] op_sel_hi:[0,0,1]
	v_cndmask_b32_e32 v5, v5, v54, vcc_lo
	v_add_nc_u64_e32 v[54:55], s[4:5], v[28:29]
	s_delay_alu instid0(VALU_DEP_2) | instskip(SKIP_1) | instid1(VALU_DEP_2)
	v_bfe_u32 v46, v5, 16, 1
	v_cmp_o_f32_e32 vcc_lo, v5, v5
	v_add3_u32 v46, v5, v46, 0x7fff
	s_delay_alu instid0(VALU_DEP_1) | instskip(NEXT) | instid1(VALU_DEP_1)
	v_lshrrev_b32_e32 v46, 16, v46
	v_cndmask_b32_e32 v5, 0x7fc0, v46, vcc_lo
	global_store_b16 v[54:55], v5, off
	s_wait_xcnt 0x0
	s_or_b32 exec_lo, exec_lo, s0
	s_and_saveexec_b32 s0, s2
	s_cbranch_execz .LBB5_8
.LBB5_32:                               ;   in Loop: Header=BB5_9 Depth=1
	v_and_b32_e32 v46, 0xffff0000, v51
	v_and_b32_e32 v49, 0xffff0000, v49
	;; [unrolled: 1-line block ×3, first 2 shown]
	s_delay_alu instid0(VALU_DEP_2) | instskip(NEXT) | instid1(VALU_DEP_2)
	v_cmp_lt_f32_e64 vcc_lo, |v49|, 0.5
	v_pk_add_f32 v[52:53], v[46:47], v[48:49] neg_lo:[0,1] neg_hi:[0,1]
	s_delay_alu instid0(VALU_DEP_1) | instskip(NEXT) | instid1(VALU_DEP_2)
	v_fmac_f32_e32 v48, v52, v49
	v_fma_mix_f32_bf16 v5, -v52, v53, v51 op_sel:[0,0,1] op_sel_hi:[0,0,1]
	s_delay_alu instid0(VALU_DEP_1) | instskip(SKIP_1) | instid1(VALU_DEP_2)
	v_cndmask_b32_e32 v5, v5, v48, vcc_lo
	v_add_nc_u64_e32 v[48:49], s[4:5], v[36:37]
	v_bfe_u32 v46, v5, 16, 1
	v_cmp_o_f32_e32 vcc_lo, v5, v5
	s_delay_alu instid0(VALU_DEP_2) | instskip(NEXT) | instid1(VALU_DEP_1)
	v_add3_u32 v46, v5, v46, 0x7fff
	v_lshrrev_b32_e32 v46, 16, v46
	s_delay_alu instid0(VALU_DEP_1)
	v_cndmask_b32_e32 v5, 0x7fc0, v46, vcc_lo
	global_store_b16 v[48:49], v5, off
	s_branch .LBB5_8
.LBB5_33:
	s_endpgm
	.section	.rodata,"a",@progbits
	.p2align	6, 0x0
	.amdhsa_kernel _ZN2at6native12_GLOBAL__N_125multi_tensor_apply_kernelINS1_18TensorListMetadataILi4EEENS1_20TernaryOpListFunctorIN3c108BFloat16ELi4ELi3ELi3EEEJNS0_11LerpFunctorIfEEEEEvT_T0_DpT1_
		.amdhsa_group_segment_fixed_size 0
		.amdhsa_private_segment_fixed_size 0
		.amdhsa_kernarg_size 3312
		.amdhsa_user_sgpr_count 2
		.amdhsa_user_sgpr_dispatch_ptr 0
		.amdhsa_user_sgpr_queue_ptr 0
		.amdhsa_user_sgpr_kernarg_segment_ptr 1
		.amdhsa_user_sgpr_dispatch_id 0
		.amdhsa_user_sgpr_kernarg_preload_length 0
		.amdhsa_user_sgpr_kernarg_preload_offset 0
		.amdhsa_user_sgpr_private_segment_size 0
		.amdhsa_wavefront_size32 1
		.amdhsa_uses_dynamic_stack 0
		.amdhsa_enable_private_segment 0
		.amdhsa_system_sgpr_workgroup_id_x 1
		.amdhsa_system_sgpr_workgroup_id_y 0
		.amdhsa_system_sgpr_workgroup_id_z 0
		.amdhsa_system_sgpr_workgroup_info 0
		.amdhsa_system_vgpr_workitem_id 0
		.amdhsa_next_free_vgpr 58
		.amdhsa_next_free_sgpr 22
		.amdhsa_named_barrier_count 0
		.amdhsa_reserve_vcc 1
		.amdhsa_float_round_mode_32 0
		.amdhsa_float_round_mode_16_64 0
		.amdhsa_float_denorm_mode_32 3
		.amdhsa_float_denorm_mode_16_64 3
		.amdhsa_fp16_overflow 0
		.amdhsa_memory_ordered 1
		.amdhsa_forward_progress 1
		.amdhsa_inst_pref_size 20
		.amdhsa_round_robin_scheduling 0
		.amdhsa_exception_fp_ieee_invalid_op 0
		.amdhsa_exception_fp_denorm_src 0
		.amdhsa_exception_fp_ieee_div_zero 0
		.amdhsa_exception_fp_ieee_overflow 0
		.amdhsa_exception_fp_ieee_underflow 0
		.amdhsa_exception_fp_ieee_inexact 0
		.amdhsa_exception_int_div_zero 0
	.end_amdhsa_kernel
	.section	.text._ZN2at6native12_GLOBAL__N_125multi_tensor_apply_kernelINS1_18TensorListMetadataILi4EEENS1_20TernaryOpListFunctorIN3c108BFloat16ELi4ELi3ELi3EEEJNS0_11LerpFunctorIfEEEEEvT_T0_DpT1_,"axG",@progbits,_ZN2at6native12_GLOBAL__N_125multi_tensor_apply_kernelINS1_18TensorListMetadataILi4EEENS1_20TernaryOpListFunctorIN3c108BFloat16ELi4ELi3ELi3EEEJNS0_11LerpFunctorIfEEEEEvT_T0_DpT1_,comdat
.Lfunc_end5:
	.size	_ZN2at6native12_GLOBAL__N_125multi_tensor_apply_kernelINS1_18TensorListMetadataILi4EEENS1_20TernaryOpListFunctorIN3c108BFloat16ELi4ELi3ELi3EEEJNS0_11LerpFunctorIfEEEEEvT_T0_DpT1_, .Lfunc_end5-_ZN2at6native12_GLOBAL__N_125multi_tensor_apply_kernelINS1_18TensorListMetadataILi4EEENS1_20TernaryOpListFunctorIN3c108BFloat16ELi4ELi3ELi3EEEJNS0_11LerpFunctorIfEEEEEvT_T0_DpT1_
                                        ; -- End function
	.set _ZN2at6native12_GLOBAL__N_125multi_tensor_apply_kernelINS1_18TensorListMetadataILi4EEENS1_20TernaryOpListFunctorIN3c108BFloat16ELi4ELi3ELi3EEEJNS0_11LerpFunctorIfEEEEEvT_T0_DpT1_.num_vgpr, 58
	.set _ZN2at6native12_GLOBAL__N_125multi_tensor_apply_kernelINS1_18TensorListMetadataILi4EEENS1_20TernaryOpListFunctorIN3c108BFloat16ELi4ELi3ELi3EEEJNS0_11LerpFunctorIfEEEEEvT_T0_DpT1_.num_agpr, 0
	.set _ZN2at6native12_GLOBAL__N_125multi_tensor_apply_kernelINS1_18TensorListMetadataILi4EEENS1_20TernaryOpListFunctorIN3c108BFloat16ELi4ELi3ELi3EEEJNS0_11LerpFunctorIfEEEEEvT_T0_DpT1_.numbered_sgpr, 22
	.set _ZN2at6native12_GLOBAL__N_125multi_tensor_apply_kernelINS1_18TensorListMetadataILi4EEENS1_20TernaryOpListFunctorIN3c108BFloat16ELi4ELi3ELi3EEEJNS0_11LerpFunctorIfEEEEEvT_T0_DpT1_.num_named_barrier, 0
	.set _ZN2at6native12_GLOBAL__N_125multi_tensor_apply_kernelINS1_18TensorListMetadataILi4EEENS1_20TernaryOpListFunctorIN3c108BFloat16ELi4ELi3ELi3EEEJNS0_11LerpFunctorIfEEEEEvT_T0_DpT1_.private_seg_size, 0
	.set _ZN2at6native12_GLOBAL__N_125multi_tensor_apply_kernelINS1_18TensorListMetadataILi4EEENS1_20TernaryOpListFunctorIN3c108BFloat16ELi4ELi3ELi3EEEJNS0_11LerpFunctorIfEEEEEvT_T0_DpT1_.uses_vcc, 1
	.set _ZN2at6native12_GLOBAL__N_125multi_tensor_apply_kernelINS1_18TensorListMetadataILi4EEENS1_20TernaryOpListFunctorIN3c108BFloat16ELi4ELi3ELi3EEEJNS0_11LerpFunctorIfEEEEEvT_T0_DpT1_.uses_flat_scratch, 0
	.set _ZN2at6native12_GLOBAL__N_125multi_tensor_apply_kernelINS1_18TensorListMetadataILi4EEENS1_20TernaryOpListFunctorIN3c108BFloat16ELi4ELi3ELi3EEEJNS0_11LerpFunctorIfEEEEEvT_T0_DpT1_.has_dyn_sized_stack, 0
	.set _ZN2at6native12_GLOBAL__N_125multi_tensor_apply_kernelINS1_18TensorListMetadataILi4EEENS1_20TernaryOpListFunctorIN3c108BFloat16ELi4ELi3ELi3EEEJNS0_11LerpFunctorIfEEEEEvT_T0_DpT1_.has_recursion, 0
	.set _ZN2at6native12_GLOBAL__N_125multi_tensor_apply_kernelINS1_18TensorListMetadataILi4EEENS1_20TernaryOpListFunctorIN3c108BFloat16ELi4ELi3ELi3EEEJNS0_11LerpFunctorIfEEEEEvT_T0_DpT1_.has_indirect_call, 0
	.section	.AMDGPU.csdata,"",@progbits
; Kernel info:
; codeLenInByte = 2496
; TotalNumSgprs: 24
; NumVgprs: 58
; ScratchSize: 0
; MemoryBound: 0
; FloatMode: 240
; IeeeMode: 1
; LDSByteSize: 0 bytes/workgroup (compile time only)
; SGPRBlocks: 0
; VGPRBlocks: 3
; NumSGPRsForWavesPerEU: 24
; NumVGPRsForWavesPerEU: 58
; NamedBarCnt: 0
; Occupancy: 16
; WaveLimiterHint : 0
; COMPUTE_PGM_RSRC2:SCRATCH_EN: 0
; COMPUTE_PGM_RSRC2:USER_SGPR: 2
; COMPUTE_PGM_RSRC2:TRAP_HANDLER: 0
; COMPUTE_PGM_RSRC2:TGID_X_EN: 1
; COMPUTE_PGM_RSRC2:TGID_Y_EN: 0
; COMPUTE_PGM_RSRC2:TGID_Z_EN: 0
; COMPUTE_PGM_RSRC2:TIDIG_COMP_CNT: 0
	.section	.text._ZN2at6native12_GLOBAL__N_125multi_tensor_apply_kernelINS1_18TensorListMetadataILi3EEENS1_20TernaryOpListFunctorIdLi3ELi3ELi0EEEJNS0_11LerpFunctorIdEEEEEvT_T0_DpT1_,"axG",@progbits,_ZN2at6native12_GLOBAL__N_125multi_tensor_apply_kernelINS1_18TensorListMetadataILi3EEENS1_20TernaryOpListFunctorIdLi3ELi3ELi0EEEJNS0_11LerpFunctorIdEEEEEvT_T0_DpT1_,comdat
	.globl	_ZN2at6native12_GLOBAL__N_125multi_tensor_apply_kernelINS1_18TensorListMetadataILi3EEENS1_20TernaryOpListFunctorIdLi3ELi3ELi0EEEJNS0_11LerpFunctorIdEEEEEvT_T0_DpT1_ ; -- Begin function _ZN2at6native12_GLOBAL__N_125multi_tensor_apply_kernelINS1_18TensorListMetadataILi3EEENS1_20TernaryOpListFunctorIdLi3ELi3ELi0EEEJNS0_11LerpFunctorIdEEEEEvT_T0_DpT1_
	.p2align	8
	.type	_ZN2at6native12_GLOBAL__N_125multi_tensor_apply_kernelINS1_18TensorListMetadataILi3EEENS1_20TernaryOpListFunctorIdLi3ELi3ELi0EEEJNS0_11LerpFunctorIdEEEEEvT_T0_DpT1_,@function
_ZN2at6native12_GLOBAL__N_125multi_tensor_apply_kernelINS1_18TensorListMetadataILi3EEENS1_20TernaryOpListFunctorIdLi3ELi3ELi0EEEJNS0_11LerpFunctorIdEEEEEvT_T0_DpT1_: ; @_ZN2at6native12_GLOBAL__N_125multi_tensor_apply_kernelINS1_18TensorListMetadataILi3EEENS1_20TernaryOpListFunctorIdLi3ELi3ELi0EEEJNS0_11LerpFunctorIdEEEEEvT_T0_DpT1_
; %bb.0:
	s_bfe_u32 s2, ttmp6, 0x4000c
	s_and_b32 s3, ttmp6, 15
	s_add_co_i32 s2, s2, 1
	s_getreg_b32 s4, hwreg(HW_REG_IB_STS2, 6, 4)
	s_mul_i32 s2, ttmp9, s2
	s_mov_b32 s11, 0
	s_add_co_i32 s3, s3, s2
	s_cmp_eq_u32 s4, 0
	s_cselect_b32 s10, ttmp9, s3
	s_load_u8 s12, s[0:1], s10 offset:0x600
	s_add_nc_u64 s[2:3], s[0:1], s[10:11]
	s_mul_u64 s[4:5], s[10:11], 3
	s_delay_alu instid0(SALU_CYCLE_1)
	s_add_nc_u64 s[4:5], s[2:3], s[4:5]
	s_load_b32 s18, s[4:5], 0x740
	s_wait_kmcnt 0x0
	s_clause 0x3
	s_load_b64 s[2:3], s[0:1], s12 offset:0x180 scale_offset
	s_load_b64 s[6:7], s[0:1], s12 offset:0x300 scale_offset
	;; [unrolled: 1-line block ×4, first 2 shown]
	s_ashr_i32 s19, s18, 31
	s_delay_alu instid0(SALU_CYCLE_1)
	s_lshl_b64 s[4:5], s[18:19], 19
	s_wait_kmcnt 0x0
	s_add_nc_u64 s[12:13], s[2:3], s[4:5]
	s_add_nc_u64 s[14:15], s[6:7], s[4:5]
	;; [unrolled: 1-line block ×3, first 2 shown]
	s_or_b32 s10, s14, s12
	s_and_b64 s[22:23], s[16:17], 31
	s_and_b32 s10, s10, 31
	s_delay_alu instid0(SALU_CYCLE_1) | instskip(SKIP_4) | instid1(SALU_CYCLE_1)
	s_cmp_lg_u32 s10, 0
	s_cselect_b32 s24, -1, 0
	s_and_b32 s10, s20, 3
	s_lshl_b64 s[18:19], s[18:19], 16
	s_or_b64 s[10:11], s[22:23], s[10:11]
	s_cmp_lg_u64 s[10:11], 0
	s_cselect_b32 s10, -1, 0
	s_delay_alu instid0(SALU_CYCLE_1)
	s_or_b32 s22, s24, s10
	s_sub_nc_u64 s[10:11], s[20:21], s[18:19]
	s_and_not1_b32 vcc_lo, exec_lo, s22
	s_mov_b32 s18, -1
	s_cbranch_vccz .LBB6_21
; %bb.1:
	v_min_i64 v[26:27], 0x10000, s[10:11]
	v_dual_mov_b32 v29, 0 :: v_dual_lshlrev_b32 v28, 2, v0
	s_mov_b32 s22, exec_lo
	s_delay_alu instid0(VALU_DEP_1)
	v_cmpx_lt_i64_e64 v[28:29], v[26:27]
	s_cbranch_execz .LBB6_20
; %bb.2:
	s_load_b32 s18, s[0:1], 0xc5c
	v_dual_mov_b32 v1, v29 :: v_dual_lshlrev_b32 v28, 5, v0
	s_mov_b32 s19, 0
	s_delay_alu instid0(SALU_CYCLE_1) | instskip(NEXT) | instid1(VALU_DEP_1)
	s_mov_b32 s21, s19
	v_mov_b64_e32 v[30:31], v[0:1]
	s_mov_b32 s23, s19
	s_wait_kmcnt 0x0
	s_and_b32 s18, s18, 0xffff
	s_delay_alu instid0(SALU_CYCLE_1)
	s_lshl_b32 s20, s18, 5
	s_branch .LBB6_4
.LBB6_3:                                ;   in Loop: Header=BB6_4 Depth=1
	s_or_b32 exec_lo, exec_lo, s24
	v_add_nc_u64_e32 v[30:31], s[18:19], v[30:31]
	s_add_nc_u64 s[14:15], s[14:15], s[20:21]
	s_add_nc_u64 s[16:17], s[16:17], s[20:21]
	;; [unrolled: 1-line block ×3, first 2 shown]
	s_clause 0x1
	global_store_b128 v[32:33], v[6:9], off
	global_store_b128 v[32:33], v[2:5], off offset:16
	v_lshlrev_b64_e32 v[10:11], 2, v[30:31]
	s_delay_alu instid0(VALU_DEP_1)
	v_cmp_ge_i64_e32 vcc_lo, v[10:11], v[26:27]
	s_or_b32 s23, vcc_lo, s23
	s_wait_xcnt 0x0
	s_and_not1_b32 exec_lo, exec_lo, s23
	s_cbranch_execz .LBB6_20
.LBB6_4:                                ; =>This Inner Loop Header: Depth=1
	v_add_nc_u64_e32 v[34:35], s[12:13], v[28:29]
	v_add_nc_u64_e32 v[36:37], s[14:15], v[28:29]
	v_add_nc_u64_e32 v[32:33], s[16:17], v[28:29]
	global_load_b128 v[22:25], v[34:35], off
	global_load_b128 v[18:21], v[36:37], off
	s_clause 0x1
	global_load_b128 v[6:9], v[32:33], off
	global_load_b128 v[2:5], v[32:33], off offset:16
	global_load_b128 v[14:17], v[34:35], off offset:16
	;; [unrolled: 1-line block ×3, first 2 shown]
	s_wait_loadcnt 0x4
	v_cmp_nlt_f64_e64 s24, |v[18:19]|, 0.5
	s_wait_loadcnt 0x3
	s_wait_xcnt 0x1
	v_add_f64_e64 v[34:35], v[22:23], -v[6:7]
	s_wait_xcnt 0x0
	s_and_saveexec_b32 s25, s24
	s_delay_alu instid0(SALU_CYCLE_1)
	s_xor_b32 s24, exec_lo, s25
	s_cbranch_execz .LBB6_6
; %bb.5:                                ;   in Loop: Header=BB6_4 Depth=1
	v_add_f64_e64 v[6:7], -v[18:19], 1.0
	s_delay_alu instid0(VALU_DEP_1)
	v_fma_f64 v[6:7], -v[34:35], v[6:7], v[22:23]
                                        ; implicit-def: $vgpr34_vgpr35
.LBB6_6:                                ;   in Loop: Header=BB6_4 Depth=1
	s_and_not1_saveexec_b32 s24, s24
; %bb.7:                                ;   in Loop: Header=BB6_4 Depth=1
	s_delay_alu instid0(VALU_DEP_1)
	v_fmac_f64_e32 v[6:7], v[34:35], v[18:19]
; %bb.8:                                ;   in Loop: Header=BB6_4 Depth=1
	s_or_b32 exec_lo, exec_lo, s24
	v_cmp_nlt_f64_e64 s24, |v[20:21]|, 0.5
	v_add_f64_e64 v[18:19], v[24:25], -v[8:9]
	s_and_saveexec_b32 s25, s24
	s_delay_alu instid0(SALU_CYCLE_1)
	s_xor_b32 s24, exec_lo, s25
	s_cbranch_execz .LBB6_10
; %bb.9:                                ;   in Loop: Header=BB6_4 Depth=1
	v_add_f64_e64 v[8:9], -v[20:21], 1.0
                                        ; implicit-def: $vgpr20_vgpr21
	s_delay_alu instid0(VALU_DEP_1)
	v_fma_f64 v[8:9], -v[18:19], v[8:9], v[24:25]
                                        ; implicit-def: $vgpr18_vgpr19
.LBB6_10:                               ;   in Loop: Header=BB6_4 Depth=1
	s_and_not1_saveexec_b32 s24, s24
; %bb.11:                               ;   in Loop: Header=BB6_4 Depth=1
	s_delay_alu instid0(VALU_DEP_1)
	v_fmac_f64_e32 v[8:9], v[18:19], v[20:21]
; %bb.12:                               ;   in Loop: Header=BB6_4 Depth=1
	s_or_b32 exec_lo, exec_lo, s24
	s_wait_loadcnt 0x0
	v_cmp_nlt_f64_e64 s24, |v[10:11]|, 0.5
	v_add_f64_e64 v[18:19], v[14:15], -v[2:3]
	s_and_saveexec_b32 s25, s24
	s_delay_alu instid0(SALU_CYCLE_1)
	s_xor_b32 s24, exec_lo, s25
	s_cbranch_execz .LBB6_14
; %bb.13:                               ;   in Loop: Header=BB6_4 Depth=1
	v_add_f64_e64 v[2:3], -v[10:11], 1.0
	s_delay_alu instid0(VALU_DEP_1)
	v_fma_f64 v[2:3], -v[18:19], v[2:3], v[14:15]
                                        ; implicit-def: $vgpr18_vgpr19
.LBB6_14:                               ;   in Loop: Header=BB6_4 Depth=1
	s_and_not1_saveexec_b32 s24, s24
; %bb.15:                               ;   in Loop: Header=BB6_4 Depth=1
	s_delay_alu instid0(VALU_DEP_1)
	v_fmac_f64_e32 v[2:3], v[18:19], v[10:11]
; %bb.16:                               ;   in Loop: Header=BB6_4 Depth=1
	s_or_b32 exec_lo, exec_lo, s24
	v_cmp_nlt_f64_e64 s24, |v[12:13]|, 0.5
	v_add_f64_e64 v[10:11], v[16:17], -v[4:5]
	s_and_saveexec_b32 s25, s24
	s_delay_alu instid0(SALU_CYCLE_1)
	s_xor_b32 s24, exec_lo, s25
	s_cbranch_execz .LBB6_18
; %bb.17:                               ;   in Loop: Header=BB6_4 Depth=1
	v_add_f64_e64 v[4:5], -v[12:13], 1.0
                                        ; implicit-def: $vgpr12_vgpr13
	s_delay_alu instid0(VALU_DEP_1)
	v_fma_f64 v[4:5], -v[10:11], v[4:5], v[16:17]
                                        ; implicit-def: $vgpr10_vgpr11
.LBB6_18:                               ;   in Loop: Header=BB6_4 Depth=1
	s_and_not1_saveexec_b32 s24, s24
	s_cbranch_execz .LBB6_3
; %bb.19:                               ;   in Loop: Header=BB6_4 Depth=1
	s_delay_alu instid0(VALU_DEP_1)
	v_fmac_f64_e32 v[4:5], v[10:11], v[12:13]
	s_branch .LBB6_3
.LBB6_20:
	s_or_b32 exec_lo, exec_lo, s22
	s_mov_b32 s18, 0
.LBB6_21:
	s_delay_alu instid0(SALU_CYCLE_1)
	s_and_not1_b32 vcc_lo, exec_lo, s18
	s_cbranch_vccnz .LBB6_65
; %bb.22:
	v_cmp_lt_i64_e64 s12, s[10:11], 1
	s_and_b32 vcc_lo, exec_lo, s12
	s_cbranch_vccnz .LBB6_65
; %bb.23:
	s_load_b32 s0, s[0:1], 0xc5c
	v_min_i64 v[2:3], 0x10000, s[10:11]
	v_min_u64 v[4:5], 0x10000, s[10:11]
	v_dual_mov_b32 v1, 0 :: v_dual_lshlrev_b32 v12, 3, v0
	s_wait_xcnt 0x0
	s_mov_b32 s1, 0
	s_delay_alu instid0(SALU_CYCLE_1) | instskip(NEXT) | instid1(VALU_DEP_1)
	s_mov_b32 s15, s1
	v_dual_mov_b32 v13, v1 :: v_dual_mov_b32 v35, v1
	s_mov_b32 s11, s1
	s_mov_b32 s13, s1
	s_delay_alu instid0(VALU_DEP_1) | instskip(SKIP_3) | instid1(SALU_CYCLE_1)
	v_add_nc_u64_e32 v[6:7], s[8:9], v[12:13]
	v_add_nc_u64_e32 v[8:9], s[2:3], v[12:13]
	s_wait_kmcnt 0x0
	s_and_b32 s0, s0, 0xffff
	v_add_nc_u64_e32 v[10:11], s[0:1], v[0:1]
	v_mad_nc_u64_u32 v[28:29], s0, 24, v[12:13]
	s_lshl_b32 s14, s0, 4
	s_mul_i32 s12, s0, 3
	v_add_nc_u64_e32 v[22:23], s[14:15], v[12:13]
	s_lshl_b32 s10, s0, 1
	v_add_nc_u64_e32 v[12:13], s[6:7], v[12:13]
	v_lshlrev_b32_e32 v34, 3, v10
	v_add_nc_u64_e32 v[14:15], s[12:13], v[0:1]
	v_add_nc_u64_e32 v[16:17], s[10:11], v[0:1]
	s_mov_b64 s[10:11], 0
	v_add_nc_u64_e32 v[18:19], s[8:9], v[22:23]
	v_add_nc_u64_e32 v[20:21], s[2:3], v[22:23]
	;; [unrolled: 1-line block ×9, first 2 shown]
	s_lshl_b32 s6, s0, 2
	s_mov_b32 s7, s1
	s_lshl_b32 s8, s0, 5
	s_mov_b32 s9, s1
	s_branch .LBB6_25
.LBB6_24:                               ;   in Loop: Header=BB6_25 Depth=1
	s_wait_xcnt 0x0
	s_or_b32 exec_lo, exec_lo, s0
	s_add_nc_u64 s[10:11], s[10:11], s[6:7]
	v_add_nc_u64_e32 v[6:7], s[8:9], v[6:7]
	v_cmp_ge_i64_e32 vcc_lo, s[10:11], v[2:3]
	v_add_nc_u64_e32 v[8:9], s[8:9], v[8:9]
	v_add_nc_u64_e32 v[12:13], s[8:9], v[12:13]
	;; [unrolled: 1-line block ×11, first 2 shown]
	s_cbranch_vccnz .LBB6_65
.LBB6_25:                               ; =>This Inner Loop Header: Depth=1
	v_add_nc_u64_e32 v[36:37], s[10:11], v[0:1]
	v_mov_b64_e32 v[44:45], 0
	v_mov_b64_e32 v[54:55], 0
	s_delay_alu instid0(VALU_DEP_3)
	v_cmp_lt_u64_e32 vcc_lo, v[36:37], v[4:5]
	v_mov_b64_e32 v[36:37], 0
	s_and_saveexec_b32 s0, vcc_lo
	s_cbranch_execz .LBB6_27
; %bb.26:                               ;   in Loop: Header=BB6_25 Depth=1
	v_add_nc_u64_e32 v[38:39], s[4:5], v[6:7]
	v_add_nc_u64_e32 v[40:41], s[4:5], v[8:9]
	global_load_b64 v[36:37], v[38:39], off
	global_load_b64 v[54:55], v[40:41], off
.LBB6_27:                               ;   in Loop: Header=BB6_25 Depth=1
	s_wait_xcnt 0x0
	s_or_b32 exec_lo, exec_lo, s0
	s_and_saveexec_b32 s0, vcc_lo
	s_cbranch_execz .LBB6_29
; %bb.28:                               ;   in Loop: Header=BB6_25 Depth=1
	v_add_nc_u64_e32 v[38:39], s[4:5], v[12:13]
	global_load_b64 v[44:45], v[38:39], off
.LBB6_29:                               ;   in Loop: Header=BB6_25 Depth=1
	s_wait_xcnt 0x0
	s_or_b32 exec_lo, exec_lo, s0
	v_add_nc_u64_e32 v[38:39], s[10:11], v[10:11]
	v_mov_b64_e32 v[46:47], 0
	v_mov_b64_e32 v[52:53], 0
	s_delay_alu instid0(VALU_DEP_3)
	v_cmp_lt_u64_e64 s0, v[38:39], v[4:5]
	v_mov_b64_e32 v[38:39], 0
	s_and_saveexec_b32 s1, s0
	s_cbranch_execz .LBB6_31
; %bb.30:                               ;   in Loop: Header=BB6_25 Depth=1
	v_add_nc_u64_e32 v[40:41], s[4:5], v[30:31]
	v_add_nc_u64_e32 v[42:43], s[4:5], v[32:33]
	global_load_b64 v[38:39], v[40:41], off
	global_load_b64 v[52:53], v[42:43], off
.LBB6_31:                               ;   in Loop: Header=BB6_25 Depth=1
	s_wait_xcnt 0x0
	s_or_b32 exec_lo, exec_lo, s1
	s_and_saveexec_b32 s1, s0
	s_cbranch_execz .LBB6_33
; %bb.32:                               ;   in Loop: Header=BB6_25 Depth=1
	v_add_nc_u64_e32 v[40:41], s[4:5], v[34:35]
	global_load_b64 v[46:47], v[40:41], off
.LBB6_33:                               ;   in Loop: Header=BB6_25 Depth=1
	s_wait_xcnt 0x0
	s_or_b32 exec_lo, exec_lo, s1
	v_add_nc_u64_e32 v[40:41], s[10:11], v[16:17]
	v_mov_b64_e32 v[48:49], 0
	v_mov_b64_e32 v[56:57], 0
	s_delay_alu instid0(VALU_DEP_3)
	v_cmp_lt_u64_e64 s1, v[40:41], v[4:5]
	v_mov_b64_e32 v[40:41], 0
	s_and_saveexec_b32 s2, s1
	s_cbranch_execz .LBB6_35
; %bb.34:                               ;   in Loop: Header=BB6_25 Depth=1
	v_add_nc_u64_e32 v[42:43], s[4:5], v[18:19]
	v_add_nc_u64_e32 v[50:51], s[4:5], v[20:21]
	global_load_b64 v[40:41], v[42:43], off
	global_load_b64 v[56:57], v[50:51], off
.LBB6_35:                               ;   in Loop: Header=BB6_25 Depth=1
	s_wait_xcnt 0x0
	s_or_b32 exec_lo, exec_lo, s2
	s_and_saveexec_b32 s2, s1
	;; [unrolled: 24-line block ×3, first 2 shown]
	s_cbranch_execz .LBB6_41
; %bb.40:                               ;   in Loop: Header=BB6_25 Depth=1
	v_add_nc_u64_e32 v[50:51], s[4:5], v[28:29]
	global_load_b64 v[50:51], v[50:51], off
.LBB6_41:                               ;   in Loop: Header=BB6_25 Depth=1
	s_wait_xcnt 0x0
	s_or_b32 exec_lo, exec_lo, s3
	s_wait_loadcnt 0x0
	v_cmp_nlt_f64_e64 s3, |v[44:45]|, 0.5
	v_add_f64_e64 v[60:61], v[54:55], -v[36:37]
	s_and_saveexec_b32 s12, s3
	s_delay_alu instid0(SALU_CYCLE_1)
	s_xor_b32 s3, exec_lo, s12
	s_cbranch_execz .LBB6_43
; %bb.42:                               ;   in Loop: Header=BB6_25 Depth=1
	v_add_f64_e64 v[36:37], -v[44:45], 1.0
                                        ; implicit-def: $vgpr44_vgpr45
	s_delay_alu instid0(VALU_DEP_1)
	v_fma_f64 v[36:37], -v[60:61], v[36:37], v[54:55]
                                        ; implicit-def: $vgpr60_vgpr61
.LBB6_43:                               ;   in Loop: Header=BB6_25 Depth=1
	s_and_not1_saveexec_b32 s3, s3
; %bb.44:                               ;   in Loop: Header=BB6_25 Depth=1
	s_delay_alu instid0(VALU_DEP_1)
	v_fmac_f64_e32 v[36:37], v[60:61], v[44:45]
; %bb.45:                               ;   in Loop: Header=BB6_25 Depth=1
	s_or_b32 exec_lo, exec_lo, s3
	v_cmp_nlt_f64_e64 s3, |v[46:47]|, 0.5
	v_add_f64_e64 v[44:45], v[52:53], -v[38:39]
	s_and_saveexec_b32 s12, s3
	s_delay_alu instid0(SALU_CYCLE_1)
	s_xor_b32 s3, exec_lo, s12
	s_cbranch_execz .LBB6_47
; %bb.46:                               ;   in Loop: Header=BB6_25 Depth=1
	v_add_f64_e64 v[38:39], -v[46:47], 1.0
                                        ; implicit-def: $vgpr46_vgpr47
	s_delay_alu instid0(VALU_DEP_1)
	v_fma_f64 v[38:39], -v[44:45], v[38:39], v[52:53]
                                        ; implicit-def: $vgpr44_vgpr45
.LBB6_47:                               ;   in Loop: Header=BB6_25 Depth=1
	s_and_not1_saveexec_b32 s3, s3
; %bb.48:                               ;   in Loop: Header=BB6_25 Depth=1
	s_delay_alu instid0(VALU_DEP_1)
	v_fmac_f64_e32 v[38:39], v[44:45], v[46:47]
; %bb.49:                               ;   in Loop: Header=BB6_25 Depth=1
	s_or_b32 exec_lo, exec_lo, s3
	v_cmp_nlt_f64_e64 s3, |v[48:49]|, 0.5
	v_add_f64_e64 v[44:45], v[56:57], -v[40:41]
	s_and_saveexec_b32 s12, s3
	s_delay_alu instid0(SALU_CYCLE_1)
	s_xor_b32 s3, exec_lo, s12
	s_cbranch_execz .LBB6_51
; %bb.50:                               ;   in Loop: Header=BB6_25 Depth=1
	v_add_f64_e64 v[40:41], -v[48:49], 1.0
                                        ; implicit-def: $vgpr48_vgpr49
	s_delay_alu instid0(VALU_DEP_1)
	v_fma_f64 v[40:41], -v[44:45], v[40:41], v[56:57]
                                        ; implicit-def: $vgpr44_vgpr45
.LBB6_51:                               ;   in Loop: Header=BB6_25 Depth=1
	s_and_not1_saveexec_b32 s3, s3
; %bb.52:                               ;   in Loop: Header=BB6_25 Depth=1
	s_delay_alu instid0(VALU_DEP_1)
	v_fmac_f64_e32 v[40:41], v[44:45], v[48:49]
; %bb.53:                               ;   in Loop: Header=BB6_25 Depth=1
	s_or_b32 exec_lo, exec_lo, s3
	v_cmp_nlt_f64_e64 s3, |v[50:51]|, 0.5
	v_add_f64_e64 v[44:45], v[58:59], -v[42:43]
	s_and_saveexec_b32 s12, s3
	s_delay_alu instid0(SALU_CYCLE_1)
	s_xor_b32 s3, exec_lo, s12
	s_cbranch_execnz .LBB6_59
; %bb.54:                               ;   in Loop: Header=BB6_25 Depth=1
	s_and_not1_saveexec_b32 s3, s3
	s_cbranch_execnz .LBB6_60
.LBB6_55:                               ;   in Loop: Header=BB6_25 Depth=1
	s_or_b32 exec_lo, exec_lo, s3
	s_and_saveexec_b32 s3, vcc_lo
	s_delay_alu instid0(SALU_CYCLE_1)
	s_xor_b32 s3, exec_lo, s3
	s_cbranch_execnz .LBB6_61
.LBB6_56:                               ;   in Loop: Header=BB6_25 Depth=1
	s_or_b32 exec_lo, exec_lo, s3
	s_and_saveexec_b32 s3, s0
	s_cbranch_execnz .LBB6_62
.LBB6_57:                               ;   in Loop: Header=BB6_25 Depth=1
	s_or_b32 exec_lo, exec_lo, s3
	s_and_saveexec_b32 s0, s1
	s_cbranch_execnz .LBB6_63
.LBB6_58:                               ;   in Loop: Header=BB6_25 Depth=1
	s_or_b32 exec_lo, exec_lo, s0
	s_and_saveexec_b32 s0, s2
	s_cbranch_execz .LBB6_24
	s_branch .LBB6_64
.LBB6_59:                               ;   in Loop: Header=BB6_25 Depth=1
	v_add_f64_e64 v[42:43], -v[50:51], 1.0
                                        ; implicit-def: $vgpr50_vgpr51
	s_delay_alu instid0(VALU_DEP_1)
	v_fma_f64 v[42:43], -v[44:45], v[42:43], v[58:59]
                                        ; implicit-def: $vgpr44_vgpr45
	s_and_not1_saveexec_b32 s3, s3
	s_cbranch_execz .LBB6_55
.LBB6_60:                               ;   in Loop: Header=BB6_25 Depth=1
	s_delay_alu instid0(VALU_DEP_1) | instskip(SKIP_2) | instid1(SALU_CYCLE_1)
	v_fmac_f64_e32 v[42:43], v[44:45], v[50:51]
	s_or_b32 exec_lo, exec_lo, s3
	s_and_saveexec_b32 s3, vcc_lo
	s_xor_b32 s3, exec_lo, s3
	s_cbranch_execz .LBB6_56
.LBB6_61:                               ;   in Loop: Header=BB6_25 Depth=1
	v_add_nc_u64_e32 v[44:45], s[4:5], v[6:7]
	global_store_b64 v[44:45], v[36:37], off
	s_wait_xcnt 0x0
	s_or_b32 exec_lo, exec_lo, s3
	s_and_saveexec_b32 s3, s0
	s_cbranch_execz .LBB6_57
.LBB6_62:                               ;   in Loop: Header=BB6_25 Depth=1
	v_add_nc_u64_e32 v[36:37], s[4:5], v[30:31]
	global_store_b64 v[36:37], v[38:39], off
	s_wait_xcnt 0x0
	s_or_b32 exec_lo, exec_lo, s3
	s_and_saveexec_b32 s0, s1
	s_cbranch_execz .LBB6_58
.LBB6_63:                               ;   in Loop: Header=BB6_25 Depth=1
	v_add_nc_u64_e32 v[36:37], s[4:5], v[18:19]
	global_store_b64 v[36:37], v[40:41], off
	s_wait_xcnt 0x0
	s_or_b32 exec_lo, exec_lo, s0
	s_and_saveexec_b32 s0, s2
	s_cbranch_execz .LBB6_24
.LBB6_64:                               ;   in Loop: Header=BB6_25 Depth=1
	v_add_nc_u64_e32 v[36:37], s[4:5], v[24:25]
	global_store_b64 v[36:37], v[42:43], off
	s_branch .LBB6_24
.LBB6_65:
	s_endpgm
	.section	.rodata,"a",@progbits
	.p2align	6, 0x0
	.amdhsa_kernel _ZN2at6native12_GLOBAL__N_125multi_tensor_apply_kernelINS1_18TensorListMetadataILi3EEENS1_20TernaryOpListFunctorIdLi3ELi3ELi0EEEJNS0_11LerpFunctorIdEEEEEvT_T0_DpT1_
		.amdhsa_group_segment_fixed_size 0
		.amdhsa_private_segment_fixed_size 0
		.amdhsa_kernarg_size 3408
		.amdhsa_user_sgpr_count 2
		.amdhsa_user_sgpr_dispatch_ptr 0
		.amdhsa_user_sgpr_queue_ptr 0
		.amdhsa_user_sgpr_kernarg_segment_ptr 1
		.amdhsa_user_sgpr_dispatch_id 0
		.amdhsa_user_sgpr_kernarg_preload_length 0
		.amdhsa_user_sgpr_kernarg_preload_offset 0
		.amdhsa_user_sgpr_private_segment_size 0
		.amdhsa_wavefront_size32 1
		.amdhsa_uses_dynamic_stack 0
		.amdhsa_enable_private_segment 0
		.amdhsa_system_sgpr_workgroup_id_x 1
		.amdhsa_system_sgpr_workgroup_id_y 0
		.amdhsa_system_sgpr_workgroup_id_z 0
		.amdhsa_system_sgpr_workgroup_info 0
		.amdhsa_system_vgpr_workitem_id 0
		.amdhsa_next_free_vgpr 64
		.amdhsa_next_free_sgpr 26
		.amdhsa_named_barrier_count 0
		.amdhsa_reserve_vcc 1
		.amdhsa_float_round_mode_32 0
		.amdhsa_float_round_mode_16_64 0
		.amdhsa_float_denorm_mode_32 3
		.amdhsa_float_denorm_mode_16_64 3
		.amdhsa_fp16_overflow 0
		.amdhsa_memory_ordered 1
		.amdhsa_forward_progress 1
		.amdhsa_inst_pref_size 16
		.amdhsa_round_robin_scheduling 0
		.amdhsa_exception_fp_ieee_invalid_op 0
		.amdhsa_exception_fp_denorm_src 0
		.amdhsa_exception_fp_ieee_div_zero 0
		.amdhsa_exception_fp_ieee_overflow 0
		.amdhsa_exception_fp_ieee_underflow 0
		.amdhsa_exception_fp_ieee_inexact 0
		.amdhsa_exception_int_div_zero 0
	.end_amdhsa_kernel
	.section	.text._ZN2at6native12_GLOBAL__N_125multi_tensor_apply_kernelINS1_18TensorListMetadataILi3EEENS1_20TernaryOpListFunctorIdLi3ELi3ELi0EEEJNS0_11LerpFunctorIdEEEEEvT_T0_DpT1_,"axG",@progbits,_ZN2at6native12_GLOBAL__N_125multi_tensor_apply_kernelINS1_18TensorListMetadataILi3EEENS1_20TernaryOpListFunctorIdLi3ELi3ELi0EEEJNS0_11LerpFunctorIdEEEEEvT_T0_DpT1_,comdat
.Lfunc_end6:
	.size	_ZN2at6native12_GLOBAL__N_125multi_tensor_apply_kernelINS1_18TensorListMetadataILi3EEENS1_20TernaryOpListFunctorIdLi3ELi3ELi0EEEJNS0_11LerpFunctorIdEEEEEvT_T0_DpT1_, .Lfunc_end6-_ZN2at6native12_GLOBAL__N_125multi_tensor_apply_kernelINS1_18TensorListMetadataILi3EEENS1_20TernaryOpListFunctorIdLi3ELi3ELi0EEEJNS0_11LerpFunctorIdEEEEEvT_T0_DpT1_
                                        ; -- End function
	.set _ZN2at6native12_GLOBAL__N_125multi_tensor_apply_kernelINS1_18TensorListMetadataILi3EEENS1_20TernaryOpListFunctorIdLi3ELi3ELi0EEEJNS0_11LerpFunctorIdEEEEEvT_T0_DpT1_.num_vgpr, 64
	.set _ZN2at6native12_GLOBAL__N_125multi_tensor_apply_kernelINS1_18TensorListMetadataILi3EEENS1_20TernaryOpListFunctorIdLi3ELi3ELi0EEEJNS0_11LerpFunctorIdEEEEEvT_T0_DpT1_.num_agpr, 0
	.set _ZN2at6native12_GLOBAL__N_125multi_tensor_apply_kernelINS1_18TensorListMetadataILi3EEENS1_20TernaryOpListFunctorIdLi3ELi3ELi0EEEJNS0_11LerpFunctorIdEEEEEvT_T0_DpT1_.numbered_sgpr, 26
	.set _ZN2at6native12_GLOBAL__N_125multi_tensor_apply_kernelINS1_18TensorListMetadataILi3EEENS1_20TernaryOpListFunctorIdLi3ELi3ELi0EEEJNS0_11LerpFunctorIdEEEEEvT_T0_DpT1_.num_named_barrier, 0
	.set _ZN2at6native12_GLOBAL__N_125multi_tensor_apply_kernelINS1_18TensorListMetadataILi3EEENS1_20TernaryOpListFunctorIdLi3ELi3ELi0EEEJNS0_11LerpFunctorIdEEEEEvT_T0_DpT1_.private_seg_size, 0
	.set _ZN2at6native12_GLOBAL__N_125multi_tensor_apply_kernelINS1_18TensorListMetadataILi3EEENS1_20TernaryOpListFunctorIdLi3ELi3ELi0EEEJNS0_11LerpFunctorIdEEEEEvT_T0_DpT1_.uses_vcc, 1
	.set _ZN2at6native12_GLOBAL__N_125multi_tensor_apply_kernelINS1_18TensorListMetadataILi3EEENS1_20TernaryOpListFunctorIdLi3ELi3ELi0EEEJNS0_11LerpFunctorIdEEEEEvT_T0_DpT1_.uses_flat_scratch, 0
	.set _ZN2at6native12_GLOBAL__N_125multi_tensor_apply_kernelINS1_18TensorListMetadataILi3EEENS1_20TernaryOpListFunctorIdLi3ELi3ELi0EEEJNS0_11LerpFunctorIdEEEEEvT_T0_DpT1_.has_dyn_sized_stack, 0
	.set _ZN2at6native12_GLOBAL__N_125multi_tensor_apply_kernelINS1_18TensorListMetadataILi3EEENS1_20TernaryOpListFunctorIdLi3ELi3ELi0EEEJNS0_11LerpFunctorIdEEEEEvT_T0_DpT1_.has_recursion, 0
	.set _ZN2at6native12_GLOBAL__N_125multi_tensor_apply_kernelINS1_18TensorListMetadataILi3EEENS1_20TernaryOpListFunctorIdLi3ELi3ELi0EEEJNS0_11LerpFunctorIdEEEEEvT_T0_DpT1_.has_indirect_call, 0
	.section	.AMDGPU.csdata,"",@progbits
; Kernel info:
; codeLenInByte = 1984
; TotalNumSgprs: 28
; NumVgprs: 64
; ScratchSize: 0
; MemoryBound: 1
; FloatMode: 240
; IeeeMode: 1
; LDSByteSize: 0 bytes/workgroup (compile time only)
; SGPRBlocks: 0
; VGPRBlocks: 3
; NumSGPRsForWavesPerEU: 28
; NumVGPRsForWavesPerEU: 64
; NamedBarCnt: 0
; Occupancy: 16
; WaveLimiterHint : 0
; COMPUTE_PGM_RSRC2:SCRATCH_EN: 0
; COMPUTE_PGM_RSRC2:USER_SGPR: 2
; COMPUTE_PGM_RSRC2:TRAP_HANDLER: 0
; COMPUTE_PGM_RSRC2:TGID_X_EN: 1
; COMPUTE_PGM_RSRC2:TGID_Y_EN: 0
; COMPUTE_PGM_RSRC2:TGID_Z_EN: 0
; COMPUTE_PGM_RSRC2:TIDIG_COMP_CNT: 0
	.section	.text._ZN2at6native12_GLOBAL__N_125multi_tensor_apply_kernelINS1_18TensorListMetadataILi3EEENS1_20TernaryOpListFunctorIfLi3ELi3ELi0EEEJNS0_11LerpFunctorIfEEEEEvT_T0_DpT1_,"axG",@progbits,_ZN2at6native12_GLOBAL__N_125multi_tensor_apply_kernelINS1_18TensorListMetadataILi3EEENS1_20TernaryOpListFunctorIfLi3ELi3ELi0EEEJNS0_11LerpFunctorIfEEEEEvT_T0_DpT1_,comdat
	.globl	_ZN2at6native12_GLOBAL__N_125multi_tensor_apply_kernelINS1_18TensorListMetadataILi3EEENS1_20TernaryOpListFunctorIfLi3ELi3ELi0EEEJNS0_11LerpFunctorIfEEEEEvT_T0_DpT1_ ; -- Begin function _ZN2at6native12_GLOBAL__N_125multi_tensor_apply_kernelINS1_18TensorListMetadataILi3EEENS1_20TernaryOpListFunctorIfLi3ELi3ELi0EEEJNS0_11LerpFunctorIfEEEEEvT_T0_DpT1_
	.p2align	8
	.type	_ZN2at6native12_GLOBAL__N_125multi_tensor_apply_kernelINS1_18TensorListMetadataILi3EEENS1_20TernaryOpListFunctorIfLi3ELi3ELi0EEEJNS0_11LerpFunctorIfEEEEEvT_T0_DpT1_,@function
_ZN2at6native12_GLOBAL__N_125multi_tensor_apply_kernelINS1_18TensorListMetadataILi3EEENS1_20TernaryOpListFunctorIfLi3ELi3ELi0EEEJNS0_11LerpFunctorIfEEEEEvT_T0_DpT1_: ; @_ZN2at6native12_GLOBAL__N_125multi_tensor_apply_kernelINS1_18TensorListMetadataILi3EEENS1_20TernaryOpListFunctorIfLi3ELi3ELi0EEEJNS0_11LerpFunctorIfEEEEEvT_T0_DpT1_
; %bb.0:
	s_bfe_u32 s2, ttmp6, 0x4000c
	s_and_b32 s3, ttmp6, 15
	s_add_co_i32 s2, s2, 1
	s_getreg_b32 s4, hwreg(HW_REG_IB_STS2, 6, 4)
	s_mul_i32 s2, ttmp9, s2
	s_delay_alu instid0(SALU_CYCLE_1)
	s_add_co_i32 s3, s3, s2
	s_cmp_eq_u32 s4, 0
	s_cselect_b32 s2, ttmp9, s3
	s_mov_b32 s3, 0
	s_load_u8 s15, s[0:1], s2 offset:0x600
	s_add_nc_u64 s[4:5], s[0:1], s[2:3]
	s_mul_u64 s[6:7], s[2:3], 3
	s_delay_alu instid0(SALU_CYCLE_1)
	s_add_nc_u64 s[4:5], s[4:5], s[6:7]
	s_load_b32 s14, s[4:5], 0x740
	s_wait_kmcnt 0x0
	s_clause 0x3
	s_load_b64 s[8:9], s[0:1], s15 offset:0x180 scale_offset
	s_load_b64 s[10:11], s[0:1], s15 offset:0x300 scale_offset
	;; [unrolled: 1-line block ×4, first 2 shown]
	s_wait_xcnt 0x0
	s_ashr_i32 s15, s14, 31
	s_delay_alu instid0(SALU_CYCLE_1) | instskip(SKIP_2) | instid1(SALU_CYCLE_1)
	s_lshl_b64 s[6:7], s[14:15], 18
	s_wait_kmcnt 0x0
	s_add_nc_u64 s[4:5], s[8:9], s[6:7]
	s_or_b32 s2, s10, s4
	s_and_b64 s[4:5], s[12:13], 15
	s_and_b32 s2, s2, 15
	s_delay_alu instid0(SALU_CYCLE_1) | instskip(SKIP_2) | instid1(SALU_CYCLE_1)
	s_cmp_lg_u32 s2, 0
	s_cselect_b32 s18, -1, 0
	s_and_b32 s2, s16, 3
	s_or_b64 s[2:3], s[4:5], s[2:3]
	s_lshl_b64 s[4:5], s[14:15], 16
	s_cmp_lg_u64 s[2:3], 0
	s_sub_nc_u64 s[14:15], s[16:17], s[4:5]
	s_cselect_b32 s2, -1, 0
	s_delay_alu instid0(SALU_CYCLE_1) | instskip(NEXT) | instid1(SALU_CYCLE_1)
	s_or_b32 s2, s18, s2
	s_and_not1_b32 vcc_lo, exec_lo, s2
	s_mov_b32 s2, -1
	s_cbranch_vccz .LBB7_5
; %bb.1:
	v_min_i64 v[2:3], 0x10000, s[14:15]
	v_dual_mov_b32 v5, 0 :: v_dual_lshlrev_b32 v4, 2, v0
	s_mov_b32 s24, exec_lo
	s_delay_alu instid0(VALU_DEP_1)
	v_cmpx_lt_i64_e64 v[4:5], v[2:3]
	s_cbranch_execz .LBB7_4
; %bb.2:
	s_load_b32 s2, s[0:1], 0xc5c
	v_dual_mov_b32 v1, v5 :: v_dual_lshlrev_b32 v4, 4, v0
	s_mov_b32 s17, 0
	s_add_nc_u64 s[18:19], s[12:13], 8
	s_add_nc_u64 s[20:21], s[8:9], 8
	s_delay_alu instid0(VALU_DEP_1)
	v_add_nc_u64_e32 v[4:5], s[6:7], v[4:5]
	v_mov_b64_e32 v[6:7], v[0:1]
	s_mov_b32 s23, s17
	s_mov_b32 s25, s17
	s_wait_kmcnt 0x0
	s_and_b32 s16, s2, 0xffff
	s_delay_alu instid0(SALU_CYCLE_1)
	s_lshl_b32 s22, s16, 4
.LBB7_3:                                ; =>This Inner Loop Header: Depth=1
	v_add_nc_u64_e32 v[20:21], s[18:19], v[4:5]
	v_add_nc_u64_e32 v[22:23], s[20:21], v[4:5]
	;; [unrolled: 1-line block ×5, first 2 shown]
	global_load_b128 v[8:11], v[20:21], off offset:-8
	global_load_b128 v[12:15], v[22:23], off offset:-8
	global_load_b128 v[16:19], v[24:25], off
	s_wait_xcnt 0x1
	v_lshlrev_b64_e32 v[22:23], 2, v[6:7]
	s_delay_alu instid0(VALU_DEP_1)
	v_cmp_ge_i64_e32 vcc_lo, v[22:23], v[2:3]
	s_or_b32 s25, vcc_lo, s25
	s_wait_loadcnt 0x1
	v_pk_add_f32 v[22:23], v[12:13], v[8:9] neg_lo:[0,1] neg_hi:[0,1]
	s_wait_loadcnt 0x0
	s_wait_xcnt 0x0
	v_pk_add_f32 v[24:25], v[16:17], 1.0 op_sel_hi:[1,0] neg_lo:[1,0] neg_hi:[1,0]
	v_pk_add_f32 v[26:27], v[14:15], v[10:11] neg_lo:[0,1] neg_hi:[0,1]
	v_pk_add_f32 v[28:29], v[18:19], 1.0 op_sel_hi:[1,0] neg_lo:[1,0] neg_hi:[1,0]
	v_cmp_lt_f32_e64 s2, |v16|, 0.5
	v_pk_fma_f32 v[8:9], v[22:23], v[16:17], v[8:9]
	v_pk_fma_f32 v[12:13], v[22:23], v[24:25], v[12:13] neg_lo:[1,0,0] neg_hi:[1,0,0]
	v_pk_fma_f32 v[10:11], v[26:27], v[18:19], v[10:11]
	v_pk_fma_f32 v[14:15], v[26:27], v[28:29], v[14:15] neg_lo:[1,0,0] neg_hi:[1,0,0]
	v_cmp_lt_f32_e64 s3, |v18|, 0.5
	v_cmp_lt_f32_e64 s4, |v19|, 0.5
	;; [unrolled: 1-line block ×3, first 2 shown]
	s_delay_alu instid0(VALU_DEP_3) | instskip(NEXT) | instid1(VALU_DEP_2)
	v_dual_cndmask_b32 v8, v12, v8, s2 :: v_dual_cndmask_b32 v10, v14, v10, s3
	v_dual_cndmask_b32 v11, v15, v11, s4 :: v_dual_cndmask_b32 v9, v13, v9, s5
	global_store_b128 v[20:21], v[8:11], off offset:-8
	s_wait_xcnt 0x0
	s_and_not1_b32 exec_lo, exec_lo, s25
	s_cbranch_execnz .LBB7_3
.LBB7_4:
	s_or_b32 exec_lo, exec_lo, s24
	s_mov_b32 s2, 0
.LBB7_5:
	s_delay_alu instid0(SALU_CYCLE_1)
	s_and_not1_b32 vcc_lo, exec_lo, s2
	s_cbranch_vccnz .LBB7_33
; %bb.6:
	v_cmp_lt_i64_e64 s2, s[14:15], 1
	s_and_b32 vcc_lo, exec_lo, s2
	s_cbranch_vccnz .LBB7_33
; %bb.7:
	s_load_b32 s0, s[0:1], 0xc5c
	v_min_i64 v[2:3], 0x10000, s[14:15]
	v_min_u64 v[4:5], 0x10000, s[14:15]
	v_dual_mov_b32 v1, 0 :: v_dual_lshlrev_b32 v14, 2, v0
	s_wait_xcnt 0x0
	s_mov_b32 s1, 0
	v_mov_b32_e32 v37, 1.0
	s_mov_b32 s5, s1
	v_dual_mov_b32 v15, v1 :: v_dual_mov_b32 v35, v1
	s_mov_b32 s3, s1
	s_mov_b32 s15, s1
	s_delay_alu instid0(VALU_DEP_1) | instskip(SKIP_4) | instid1(SALU_CYCLE_1)
	v_add_nc_u64_e32 v[6:7], s[12:13], v[14:15]
	v_add_nc_u64_e32 v[8:9], s[8:9], v[14:15]
	;; [unrolled: 1-line block ×3, first 2 shown]
	s_wait_kmcnt 0x0
	s_and_b32 s0, s0, 0xffff
	v_add_nc_u64_e32 v[12:13], s[0:1], v[0:1]
	v_mad_nc_u64_u32 v[28:29], s0, 12, v[14:15]
	s_lshl_b32 s4, s0, 3
	s_lshl_b32 s2, s0, 1
	v_add_nc_u64_e32 v[22:23], s[4:5], v[14:15]
	s_mul_i32 s14, s0, 3
	v_add_nc_u64_e32 v[16:17], s[2:3], v[0:1]
	v_lshlrev_b32_e32 v34, 2, v12
	v_add_nc_u64_e32 v[14:15], s[14:15], v[0:1]
	s_lshl_b32 s4, s0, 2
	s_delay_alu instid0(VALU_DEP_4)
	v_add_nc_u64_e32 v[18:19], s[12:13], v[22:23]
	v_add_nc_u64_e32 v[20:21], s[8:9], v[22:23]
	;; [unrolled: 1-line block ×9, first 2 shown]
	s_lshl_b32 s8, s0, 4
	s_mov_b32 s9, s1
	s_mov_b64 s[10:11], 0
	s_branch .LBB7_9
.LBB7_8:                                ;   in Loop: Header=BB7_9 Depth=1
	s_wait_xcnt 0x0
	s_or_b32 exec_lo, exec_lo, s0
	s_add_nc_u64 s[10:11], s[10:11], s[4:5]
	v_add_nc_u64_e32 v[6:7], s[8:9], v[6:7]
	v_cmp_ge_i64_e32 vcc_lo, s[10:11], v[2:3]
	v_add_nc_u64_e32 v[8:9], s[8:9], v[8:9]
	v_add_nc_u64_e32 v[10:11], s[8:9], v[10:11]
	;; [unrolled: 1-line block ×11, first 2 shown]
	s_cbranch_vccnz .LBB7_33
.LBB7_9:                                ; =>This Inner Loop Header: Depth=1
	s_wait_loadcnt 0x0
	v_add_nc_u64_e32 v[38:39], s[10:11], v[0:1]
	v_mov_b32_e32 v36, 0
	s_delay_alu instid0(VALU_DEP_2)
	v_cmp_lt_u64_e32 vcc_lo, v[38:39], v[4:5]
	v_mov_b32_e32 v38, 0
	s_and_saveexec_b32 s0, vcc_lo
	s_cbranch_execz .LBB7_11
; %bb.10:                               ;   in Loop: Header=BB7_9 Depth=1
	v_add_nc_u64_e32 v[40:41], s[6:7], v[6:7]
	v_add_nc_u64_e32 v[42:43], s[6:7], v[8:9]
	global_load_b32 v38, v[40:41], off
	global_load_b32 v36, v[42:43], off
.LBB7_11:                               ;   in Loop: Header=BB7_9 Depth=1
	s_wait_xcnt 0x0
	s_or_b32 exec_lo, exec_lo, s0
	v_dual_mov_b32 v40, 0 :: v_dual_mov_b32 v39, 0
	s_and_saveexec_b32 s0, vcc_lo
	s_cbranch_execz .LBB7_13
; %bb.12:                               ;   in Loop: Header=BB7_9 Depth=1
	v_add_nc_u64_e32 v[42:43], s[6:7], v[10:11]
	global_load_b32 v39, v[42:43], off
.LBB7_13:                               ;   in Loop: Header=BB7_9 Depth=1
	s_wait_xcnt 0x0
	s_or_b32 exec_lo, exec_lo, s0
	v_add_nc_u64_e32 v[42:43], s[10:11], v[12:13]
	v_mov_b32_e32 v41, 0
	s_delay_alu instid0(VALU_DEP_2)
	v_cmp_lt_u64_e64 s0, v[42:43], v[4:5]
	s_and_saveexec_b32 s1, s0
	s_cbranch_execz .LBB7_15
; %bb.14:                               ;   in Loop: Header=BB7_9 Depth=1
	v_add_nc_u64_e32 v[42:43], s[6:7], v[30:31]
	v_add_nc_u64_e32 v[44:45], s[6:7], v[32:33]
	global_load_b32 v41, v[42:43], off
	global_load_b32 v40, v[44:45], off
.LBB7_15:                               ;   in Loop: Header=BB7_9 Depth=1
	s_wait_xcnt 0x0
	s_or_b32 exec_lo, exec_lo, s1
	v_dual_mov_b32 v42, 0 :: v_dual_mov_b32 v44, 0
	s_and_saveexec_b32 s1, s0
	s_cbranch_execz .LBB7_17
; %bb.16:                               ;   in Loop: Header=BB7_9 Depth=1
	v_add_nc_u64_e32 v[44:45], s[6:7], v[34:35]
	global_load_b32 v44, v[44:45], off
.LBB7_17:                               ;   in Loop: Header=BB7_9 Depth=1
	s_wait_xcnt 0x0
	s_or_b32 exec_lo, exec_lo, s1
	v_add_nc_u64_e32 v[46:47], s[10:11], v[16:17]
	v_mov_b32_e32 v43, 0
	s_delay_alu instid0(VALU_DEP_2)
	v_cmp_lt_u64_e64 s1, v[46:47], v[4:5]
	s_and_saveexec_b32 s2, s1
	s_cbranch_execz .LBB7_19
; %bb.18:                               ;   in Loop: Header=BB7_9 Depth=1
	v_add_nc_u64_e32 v[46:47], s[6:7], v[18:19]
	v_add_nc_u64_e32 v[48:49], s[6:7], v[20:21]
	global_load_b32 v43, v[46:47], off
	global_load_b32 v42, v[48:49], off
.LBB7_19:                               ;   in Loop: Header=BB7_9 Depth=1
	s_wait_xcnt 0x0
	s_or_b32 exec_lo, exec_lo, s2
	v_dual_mov_b32 v45, 0 :: v_dual_mov_b32 v47, 0
	s_and_saveexec_b32 s2, s1
	s_cbranch_execz .LBB7_21
; %bb.20:                               ;   in Loop: Header=BB7_9 Depth=1
	v_add_nc_u64_e32 v[46:47], s[6:7], v[22:23]
	global_load_b32 v47, v[46:47], off
.LBB7_21:                               ;   in Loop: Header=BB7_9 Depth=1
	s_wait_xcnt 0x0
	s_or_b32 exec_lo, exec_lo, s2
	v_add_nc_u64_e32 v[48:49], s[10:11], v[14:15]
	v_mov_b32_e32 v46, 0
	s_delay_alu instid0(VALU_DEP_2)
	v_cmp_lt_u64_e64 s2, v[48:49], v[4:5]
	s_and_saveexec_b32 s3, s2
	s_cbranch_execnz .LBB7_27
; %bb.22:                               ;   in Loop: Header=BB7_9 Depth=1
	s_or_b32 exec_lo, exec_lo, s3
	v_mov_b32_e32 v48, 0
	s_and_saveexec_b32 s3, s2
	s_cbranch_execnz .LBB7_28
.LBB7_23:                               ;   in Loop: Header=BB7_9 Depth=1
	s_or_b32 exec_lo, exec_lo, s3
	s_and_saveexec_b32 s3, vcc_lo
	s_cbranch_execnz .LBB7_29
.LBB7_24:                               ;   in Loop: Header=BB7_9 Depth=1
	s_or_b32 exec_lo, exec_lo, s3
	s_and_saveexec_b32 s3, s0
	s_cbranch_execnz .LBB7_30
.LBB7_25:                               ;   in Loop: Header=BB7_9 Depth=1
	s_or_b32 exec_lo, exec_lo, s3
	s_and_saveexec_b32 s0, s1
	s_cbranch_execnz .LBB7_31
.LBB7_26:                               ;   in Loop: Header=BB7_9 Depth=1
	s_or_b32 exec_lo, exec_lo, s0
	s_and_saveexec_b32 s0, s2
	s_cbranch_execz .LBB7_8
	s_branch .LBB7_32
.LBB7_27:                               ;   in Loop: Header=BB7_9 Depth=1
	v_add_nc_u64_e32 v[48:49], s[6:7], v[24:25]
	v_add_nc_u64_e32 v[50:51], s[6:7], v[26:27]
	global_load_b32 v46, v[48:49], off
	global_load_b32 v45, v[50:51], off
	s_wait_xcnt 0x0
	s_or_b32 exec_lo, exec_lo, s3
	v_mov_b32_e32 v48, 0
	s_and_saveexec_b32 s3, s2
	s_cbranch_execz .LBB7_23
.LBB7_28:                               ;   in Loop: Header=BB7_9 Depth=1
	v_add_nc_u64_e32 v[48:49], s[6:7], v[28:29]
	global_load_b32 v48, v[48:49], off
	s_wait_xcnt 0x0
	s_or_b32 exec_lo, exec_lo, s3
	s_and_saveexec_b32 s3, vcc_lo
	s_cbranch_execz .LBB7_24
.LBB7_29:                               ;   in Loop: Header=BB7_9 Depth=1
	s_wait_loadcnt 0x0
	v_pk_add_f32 v[50:51], v[36:37], v[38:39] neg_lo:[0,1] neg_hi:[0,1]
	v_cmp_lt_f32_e64 vcc_lo, |v39|, 0.5
	s_delay_alu instid0(VALU_DEP_2) | instskip(NEXT) | instid1(VALU_DEP_3)
	v_fmac_f32_e32 v38, v50, v39
	v_fma_f32 v36, -v50, v51, v36
	v_add_nc_u64_e32 v[50:51], s[6:7], v[6:7]
	s_delay_alu instid0(VALU_DEP_2)
	v_cndmask_b32_e32 v36, v36, v38, vcc_lo
	global_store_b32 v[50:51], v36, off
	s_wait_xcnt 0x0
	s_or_b32 exec_lo, exec_lo, s3
	s_and_saveexec_b32 s3, s0
	s_cbranch_execz .LBB7_25
.LBB7_30:                               ;   in Loop: Header=BB7_9 Depth=1
	s_wait_loadcnt 0x0
	v_dual_sub_f32 v36, v40, v41 :: v_dual_sub_f32 v38, 1.0, v44
	v_cmp_lt_f32_e64 vcc_lo, |v44|, 0.5
	s_delay_alu instid0(VALU_DEP_2) | instskip(SKIP_1) | instid1(VALU_DEP_2)
	v_dual_fmac_f32 v41, v36, v44 :: v_dual_fma_f32 v36, -v36, v38, v40
	v_add_nc_u64_e32 v[38:39], s[6:7], v[30:31]
	v_cndmask_b32_e32 v36, v36, v41, vcc_lo
	global_store_b32 v[38:39], v36, off
	s_wait_xcnt 0x0
	s_or_b32 exec_lo, exec_lo, s3
	s_and_saveexec_b32 s0, s1
	s_cbranch_execz .LBB7_26
.LBB7_31:                               ;   in Loop: Header=BB7_9 Depth=1
	s_wait_loadcnt 0x0
	v_sub_f32_e32 v36, v42, v43
	v_sub_f32_e32 v38, 1.0, v47
	v_cmp_lt_f32_e64 vcc_lo, |v47|, 0.5
	s_delay_alu instid0(VALU_DEP_2) | instskip(SKIP_1) | instid1(VALU_DEP_2)
	v_dual_fmac_f32 v43, v36, v47 :: v_dual_fma_f32 v36, -v36, v38, v42
	v_add_nc_u64_e32 v[38:39], s[6:7], v[18:19]
	v_cndmask_b32_e32 v36, v36, v43, vcc_lo
	global_store_b32 v[38:39], v36, off
	s_wait_xcnt 0x0
	s_or_b32 exec_lo, exec_lo, s0
	s_and_saveexec_b32 s0, s2
	s_cbranch_execz .LBB7_8
.LBB7_32:                               ;   in Loop: Header=BB7_9 Depth=1
	s_wait_loadcnt 0x0
	v_dual_sub_f32 v36, v45, v46 :: v_dual_sub_f32 v38, 1.0, v48
	v_cmp_lt_f32_e64 vcc_lo, |v48|, 0.5
	s_delay_alu instid0(VALU_DEP_2) | instskip(SKIP_1) | instid1(VALU_DEP_2)
	v_dual_fmac_f32 v46, v36, v48 :: v_dual_fma_f32 v36, -v36, v38, v45
	v_add_nc_u64_e32 v[38:39], s[6:7], v[24:25]
	v_cndmask_b32_e32 v36, v36, v46, vcc_lo
	global_store_b32 v[38:39], v36, off
	s_branch .LBB7_8
.LBB7_33:
	s_endpgm
	.section	.rodata,"a",@progbits
	.p2align	6, 0x0
	.amdhsa_kernel _ZN2at6native12_GLOBAL__N_125multi_tensor_apply_kernelINS1_18TensorListMetadataILi3EEENS1_20TernaryOpListFunctorIfLi3ELi3ELi0EEEJNS0_11LerpFunctorIfEEEEEvT_T0_DpT1_
		.amdhsa_group_segment_fixed_size 0
		.amdhsa_private_segment_fixed_size 0
		.amdhsa_kernarg_size 3408
		.amdhsa_user_sgpr_count 2
		.amdhsa_user_sgpr_dispatch_ptr 0
		.amdhsa_user_sgpr_queue_ptr 0
		.amdhsa_user_sgpr_kernarg_segment_ptr 1
		.amdhsa_user_sgpr_dispatch_id 0
		.amdhsa_user_sgpr_kernarg_preload_length 0
		.amdhsa_user_sgpr_kernarg_preload_offset 0
		.amdhsa_user_sgpr_private_segment_size 0
		.amdhsa_wavefront_size32 1
		.amdhsa_uses_dynamic_stack 0
		.amdhsa_enable_private_segment 0
		.amdhsa_system_sgpr_workgroup_id_x 1
		.amdhsa_system_sgpr_workgroup_id_y 0
		.amdhsa_system_sgpr_workgroup_id_z 0
		.amdhsa_system_sgpr_workgroup_info 0
		.amdhsa_system_vgpr_workitem_id 0
		.amdhsa_next_free_vgpr 52
		.amdhsa_next_free_sgpr 26
		.amdhsa_named_barrier_count 0
		.amdhsa_reserve_vcc 1
		.amdhsa_float_round_mode_32 0
		.amdhsa_float_round_mode_16_64 0
		.amdhsa_float_denorm_mode_32 3
		.amdhsa_float_denorm_mode_16_64 3
		.amdhsa_fp16_overflow 0
		.amdhsa_memory_ordered 1
		.amdhsa_forward_progress 1
		.amdhsa_inst_pref_size 14
		.amdhsa_round_robin_scheduling 0
		.amdhsa_exception_fp_ieee_invalid_op 0
		.amdhsa_exception_fp_denorm_src 0
		.amdhsa_exception_fp_ieee_div_zero 0
		.amdhsa_exception_fp_ieee_overflow 0
		.amdhsa_exception_fp_ieee_underflow 0
		.amdhsa_exception_fp_ieee_inexact 0
		.amdhsa_exception_int_div_zero 0
	.end_amdhsa_kernel
	.section	.text._ZN2at6native12_GLOBAL__N_125multi_tensor_apply_kernelINS1_18TensorListMetadataILi3EEENS1_20TernaryOpListFunctorIfLi3ELi3ELi0EEEJNS0_11LerpFunctorIfEEEEEvT_T0_DpT1_,"axG",@progbits,_ZN2at6native12_GLOBAL__N_125multi_tensor_apply_kernelINS1_18TensorListMetadataILi3EEENS1_20TernaryOpListFunctorIfLi3ELi3ELi0EEEJNS0_11LerpFunctorIfEEEEEvT_T0_DpT1_,comdat
.Lfunc_end7:
	.size	_ZN2at6native12_GLOBAL__N_125multi_tensor_apply_kernelINS1_18TensorListMetadataILi3EEENS1_20TernaryOpListFunctorIfLi3ELi3ELi0EEEJNS0_11LerpFunctorIfEEEEEvT_T0_DpT1_, .Lfunc_end7-_ZN2at6native12_GLOBAL__N_125multi_tensor_apply_kernelINS1_18TensorListMetadataILi3EEENS1_20TernaryOpListFunctorIfLi3ELi3ELi0EEEJNS0_11LerpFunctorIfEEEEEvT_T0_DpT1_
                                        ; -- End function
	.set _ZN2at6native12_GLOBAL__N_125multi_tensor_apply_kernelINS1_18TensorListMetadataILi3EEENS1_20TernaryOpListFunctorIfLi3ELi3ELi0EEEJNS0_11LerpFunctorIfEEEEEvT_T0_DpT1_.num_vgpr, 52
	.set _ZN2at6native12_GLOBAL__N_125multi_tensor_apply_kernelINS1_18TensorListMetadataILi3EEENS1_20TernaryOpListFunctorIfLi3ELi3ELi0EEEJNS0_11LerpFunctorIfEEEEEvT_T0_DpT1_.num_agpr, 0
	.set _ZN2at6native12_GLOBAL__N_125multi_tensor_apply_kernelINS1_18TensorListMetadataILi3EEENS1_20TernaryOpListFunctorIfLi3ELi3ELi0EEEJNS0_11LerpFunctorIfEEEEEvT_T0_DpT1_.numbered_sgpr, 26
	.set _ZN2at6native12_GLOBAL__N_125multi_tensor_apply_kernelINS1_18TensorListMetadataILi3EEENS1_20TernaryOpListFunctorIfLi3ELi3ELi0EEEJNS0_11LerpFunctorIfEEEEEvT_T0_DpT1_.num_named_barrier, 0
	.set _ZN2at6native12_GLOBAL__N_125multi_tensor_apply_kernelINS1_18TensorListMetadataILi3EEENS1_20TernaryOpListFunctorIfLi3ELi3ELi0EEEJNS0_11LerpFunctorIfEEEEEvT_T0_DpT1_.private_seg_size, 0
	.set _ZN2at6native12_GLOBAL__N_125multi_tensor_apply_kernelINS1_18TensorListMetadataILi3EEENS1_20TernaryOpListFunctorIfLi3ELi3ELi0EEEJNS0_11LerpFunctorIfEEEEEvT_T0_DpT1_.uses_vcc, 1
	.set _ZN2at6native12_GLOBAL__N_125multi_tensor_apply_kernelINS1_18TensorListMetadataILi3EEENS1_20TernaryOpListFunctorIfLi3ELi3ELi0EEEJNS0_11LerpFunctorIfEEEEEvT_T0_DpT1_.uses_flat_scratch, 0
	.set _ZN2at6native12_GLOBAL__N_125multi_tensor_apply_kernelINS1_18TensorListMetadataILi3EEENS1_20TernaryOpListFunctorIfLi3ELi3ELi0EEEJNS0_11LerpFunctorIfEEEEEvT_T0_DpT1_.has_dyn_sized_stack, 0
	.set _ZN2at6native12_GLOBAL__N_125multi_tensor_apply_kernelINS1_18TensorListMetadataILi3EEENS1_20TernaryOpListFunctorIfLi3ELi3ELi0EEEJNS0_11LerpFunctorIfEEEEEvT_T0_DpT1_.has_recursion, 0
	.set _ZN2at6native12_GLOBAL__N_125multi_tensor_apply_kernelINS1_18TensorListMetadataILi3EEENS1_20TernaryOpListFunctorIfLi3ELi3ELi0EEEJNS0_11LerpFunctorIfEEEEEvT_T0_DpT1_.has_indirect_call, 0
	.section	.AMDGPU.csdata,"",@progbits
; Kernel info:
; codeLenInByte = 1668
; TotalNumSgprs: 28
; NumVgprs: 52
; ScratchSize: 0
; MemoryBound: 0
; FloatMode: 240
; IeeeMode: 1
; LDSByteSize: 0 bytes/workgroup (compile time only)
; SGPRBlocks: 0
; VGPRBlocks: 3
; NumSGPRsForWavesPerEU: 28
; NumVGPRsForWavesPerEU: 52
; NamedBarCnt: 0
; Occupancy: 16
; WaveLimiterHint : 0
; COMPUTE_PGM_RSRC2:SCRATCH_EN: 0
; COMPUTE_PGM_RSRC2:USER_SGPR: 2
; COMPUTE_PGM_RSRC2:TRAP_HANDLER: 0
; COMPUTE_PGM_RSRC2:TGID_X_EN: 1
; COMPUTE_PGM_RSRC2:TGID_Y_EN: 0
; COMPUTE_PGM_RSRC2:TGID_Z_EN: 0
; COMPUTE_PGM_RSRC2:TIDIG_COMP_CNT: 0
	.section	.text._ZN2at6native12_GLOBAL__N_125multi_tensor_apply_kernelINS1_18TensorListMetadataILi3EEENS1_20TernaryOpListFunctorIN3c107complexIdEELi3ELi3ELi0EEEJNS0_11LerpFunctorIS8_EEEEEvT_T0_DpT1_,"axG",@progbits,_ZN2at6native12_GLOBAL__N_125multi_tensor_apply_kernelINS1_18TensorListMetadataILi3EEENS1_20TernaryOpListFunctorIN3c107complexIdEELi3ELi3ELi0EEEJNS0_11LerpFunctorIS8_EEEEEvT_T0_DpT1_,comdat
	.globl	_ZN2at6native12_GLOBAL__N_125multi_tensor_apply_kernelINS1_18TensorListMetadataILi3EEENS1_20TernaryOpListFunctorIN3c107complexIdEELi3ELi3ELi0EEEJNS0_11LerpFunctorIS8_EEEEEvT_T0_DpT1_ ; -- Begin function _ZN2at6native12_GLOBAL__N_125multi_tensor_apply_kernelINS1_18TensorListMetadataILi3EEENS1_20TernaryOpListFunctorIN3c107complexIdEELi3ELi3ELi0EEEJNS0_11LerpFunctorIS8_EEEEEvT_T0_DpT1_
	.p2align	8
	.type	_ZN2at6native12_GLOBAL__N_125multi_tensor_apply_kernelINS1_18TensorListMetadataILi3EEENS1_20TernaryOpListFunctorIN3c107complexIdEELi3ELi3ELi0EEEJNS0_11LerpFunctorIS8_EEEEEvT_T0_DpT1_,@function
_ZN2at6native12_GLOBAL__N_125multi_tensor_apply_kernelINS1_18TensorListMetadataILi3EEENS1_20TernaryOpListFunctorIN3c107complexIdEELi3ELi3ELi0EEEJNS0_11LerpFunctorIS8_EEEEEvT_T0_DpT1_: ; @_ZN2at6native12_GLOBAL__N_125multi_tensor_apply_kernelINS1_18TensorListMetadataILi3EEENS1_20TernaryOpListFunctorIN3c107complexIdEELi3ELi3ELi0EEEJNS0_11LerpFunctorIS8_EEEEEvT_T0_DpT1_
; %bb.0:
	s_bfe_u32 s2, ttmp6, 0x4000c
	s_and_b32 s3, ttmp6, 15
	s_add_co_i32 s2, s2, 1
	s_getreg_b32 s4, hwreg(HW_REG_IB_STS2, 6, 4)
	s_mul_i32 s2, ttmp9, s2
	s_delay_alu instid0(SALU_CYCLE_1)
	s_add_co_i32 s3, s3, s2
	s_cmp_eq_u32 s4, 0
	s_cselect_b32 s2, ttmp9, s3
	s_mov_b32 s3, 0
	s_load_u8 s9, s[0:1], s2 offset:0x600
	s_add_nc_u64 s[4:5], s[0:1], s[2:3]
	s_mul_u64 s[6:7], s[2:3], 3
	s_delay_alu instid0(SALU_CYCLE_1)
	s_add_nc_u64 s[4:5], s[4:5], s[6:7]
	s_load_b32 s8, s[4:5], 0x740
	s_wait_kmcnt 0x0
	s_clause 0x3
	s_load_b64 s[6:7], s[0:1], s9 offset:0x180 scale_offset
	s_load_b64 s[10:11], s[0:1], s9 offset:0x300 scale_offset
	;; [unrolled: 1-line block ×4, first 2 shown]
	s_wait_xcnt 0x0
	s_ashr_i32 s9, s8, 31
	s_delay_alu instid0(SALU_CYCLE_1)
	s_lshl_b64 s[16:17], s[8:9], 20
	s_wait_kmcnt 0x0
	s_add_nc_u64 s[4:5], s[6:7], s[16:17]
	s_add_nc_u64 s[6:7], s[10:11], s[16:17]
	s_lshl_b64 s[10:11], s[8:9], 16
	s_or_b32 s2, s6, s4
	s_add_nc_u64 s[8:9], s[12:13], s[16:17]
	s_and_b32 s2, s2, 63
	s_and_b64 s[12:13], s[8:9], 63
	s_cmp_lg_u32 s2, 0
	s_cselect_b32 s16, -1, 0
	s_and_b32 s2, s14, 3
	s_delay_alu instid0(SALU_CYCLE_1) | instskip(NEXT) | instid1(SALU_CYCLE_1)
	s_or_b64 s[2:3], s[12:13], s[2:3]
	s_cmp_lg_u64 s[2:3], 0
	s_cselect_b32 s2, -1, 0
	s_delay_alu instid0(SALU_CYCLE_1)
	s_or_b32 s12, s16, s2
	s_sub_nc_u64 s[2:3], s[14:15], s[10:11]
	s_and_not1_b32 vcc_lo, exec_lo, s12
	s_mov_b32 s10, -1
	s_cbranch_vccz .LBB8_21
; %bb.1:
	v_min_i64 v[54:55], 0x10000, s[2:3]
	v_dual_mov_b32 v57, 0 :: v_dual_lshlrev_b32 v56, 2, v0
	s_mov_b32 s20, exec_lo
	s_delay_alu instid0(VALU_DEP_1)
	v_cmpx_lt_i64_e64 v[56:57], v[54:55]
	s_cbranch_execz .LBB8_20
; %bb.2:
	s_load_b32 s10, s[0:1], 0xc5c
	v_dual_mov_b32 v1, v57 :: v_dual_lshlrev_b32 v56, 6, v0
	s_mov_b32 s11, 0
	s_mov_b64 s[12:13], s[4:5]
	s_mov_b64 s[14:15], s[8:9]
	s_delay_alu instid0(VALU_DEP_1)
	v_mov_b64_e32 v[58:59], v[0:1]
	s_mov_b32 s17, s11
	s_mov_b32 s21, s11
	s_mov_b64 s[18:19], s[6:7]
	s_wait_kmcnt 0x0
	s_and_b32 s10, s10, 0xffff
	s_delay_alu instid0(SALU_CYCLE_1)
	s_lshl_b32 s16, s10, 6
	s_branch .LBB8_4
.LBB8_3:                                ;   in Loop: Header=BB8_4 Depth=1
	s_or_b32 exec_lo, exec_lo, s22
	v_add_nc_u64_e32 v[58:59], s[10:11], v[58:59]
	s_add_nc_u64 s[18:19], s[18:19], s[16:17]
	s_add_nc_u64 s[14:15], s[14:15], s[16:17]
	;; [unrolled: 1-line block ×3, first 2 shown]
	s_clause 0x3
	global_store_b128 v[60:61], v[2:5], off
	global_store_b128 v[60:61], v[18:21], off offset:16
	global_store_b128 v[60:61], v[34:37], off offset:32
	;; [unrolled: 1-line block ×3, first 2 shown]
	v_lshlrev_b64_e32 v[6:7], 2, v[58:59]
	s_delay_alu instid0(VALU_DEP_1)
	v_cmp_ge_i64_e32 vcc_lo, v[6:7], v[54:55]
	s_or_b32 s21, vcc_lo, s21
	s_wait_xcnt 0x0
	s_and_not1_b32 exec_lo, exec_lo, s21
	s_cbranch_execz .LBB8_20
.LBB8_4:                                ; =>This Inner Loop Header: Depth=1
	v_add_nc_u64_e32 v[2:3], s[18:19], v[56:57]
	v_add_nc_u64_e32 v[60:61], s[14:15], v[56:57]
	;; [unrolled: 1-line block ×3, first 2 shown]
	global_load_b128 v[18:21], v[2:3], off
	global_load_b128 v[46:49], v[60:61], off
	global_load_b128 v[50:53], v[4:5], off
	global_load_b128 v[34:37], v[2:3], off offset:16
	global_load_b128 v[38:41], v[60:61], off offset:16
	;; [unrolled: 1-line block ×3, first 2 shown]
	s_clause 0x1
	global_load_b128 v[10:13], v[60:61], off offset:48
	global_load_b128 v[26:29], v[60:61], off offset:32
	s_clause 0x1
	global_load_b128 v[14:17], v[4:5], off offset:48
	global_load_b128 v[30:33], v[4:5], off offset:32
	s_clause 0x1
	global_load_b128 v[6:9], v[2:3], off offset:48
	global_load_b128 v[22:25], v[2:3], off offset:32
	s_wait_loadcnt 0x9
	v_add_f64_e64 v[64:65], v[50:51], -v[46:47]
	v_add_f64_e64 v[62:63], v[52:53], -v[48:49]
	s_wait_xcnt 0x0
	v_mul_f64_e32 v[2:3], v[20:21], v[20:21]
	s_delay_alu instid0(VALU_DEP_1) | instskip(NEXT) | instid1(VALU_DEP_1)
	v_fmac_f64_e32 v[2:3], v[18:19], v[18:19]
	v_cmp_ngt_f64_e32 vcc_lo, 0x3fd00000, v[2:3]
                                        ; implicit-def: $vgpr4_vgpr5
	s_and_saveexec_b32 s22, vcc_lo
	s_delay_alu instid0(SALU_CYCLE_1)
	s_xor_b32 s22, exec_lo, s22
	s_cbranch_execz .LBB8_6
; %bb.5:                                ;   in Loop: Header=BB8_4 Depth=1
	v_add_f64_e64 v[2:3], -v[20:21], 0
	v_add_f64_e64 v[4:5], -v[18:19], 1.0
                                        ; implicit-def: $vgpr46_vgpr47
	s_delay_alu instid0(VALU_DEP_2) | instskip(SKIP_1) | instid1(VALU_DEP_2)
	v_mul_f64_e32 v[18:19], v[62:63], v[2:3]
	v_mul_f64_e32 v[20:21], v[64:65], v[2:3]
	v_fma_f64 v[2:3], v[64:65], v[4:5], -v[18:19]
	s_delay_alu instid0(VALU_DEP_2) | instskip(NEXT) | instid1(VALU_DEP_2)
	v_fmac_f64_e32 v[20:21], v[62:63], v[4:5]
                                        ; implicit-def: $vgpr62_vgpr63
                                        ; implicit-def: $vgpr64_vgpr65
	v_add_f64_e64 v[2:3], v[50:51], -v[2:3]
	s_delay_alu instid0(VALU_DEP_2)
	v_add_f64_e64 v[4:5], v[52:53], -v[20:21]
                                        ; implicit-def: $vgpr20_vgpr21
.LBB8_6:                                ;   in Loop: Header=BB8_4 Depth=1
	s_and_not1_saveexec_b32 s22, s22
	s_cbranch_execz .LBB8_8
; %bb.7:                                ;   in Loop: Header=BB8_4 Depth=1
	s_delay_alu instid0(VALU_DEP_4) | instskip(SKIP_1) | instid1(VALU_DEP_2)
	v_mul_f64_e32 v[2:3], v[62:63], v[20:21]
	v_mul_f64_e32 v[4:5], v[64:65], v[20:21]
	v_fma_f64 v[2:3], v[64:65], v[18:19], -v[2:3]
	s_delay_alu instid0(VALU_DEP_2) | instskip(NEXT) | instid1(VALU_DEP_2)
	v_fmac_f64_e32 v[4:5], v[62:63], v[18:19]
	v_add_f64_e32 v[2:3], v[46:47], v[2:3]
	s_delay_alu instid0(VALU_DEP_2)
	v_add_f64_e32 v[4:5], v[48:49], v[4:5]
.LBB8_8:                                ;   in Loop: Header=BB8_4 Depth=1
	s_or_b32 exec_lo, exec_lo, s22
	s_wait_loadcnt 0x8
	v_mul_f64_e32 v[18:19], v[36:37], v[36:37]
	s_wait_loadcnt 0x6
	v_add_f64_e64 v[48:49], v[42:43], -v[38:39]
	v_add_f64_e64 v[46:47], v[44:45], -v[40:41]
	s_delay_alu instid0(VALU_DEP_3) | instskip(NEXT) | instid1(VALU_DEP_1)
	v_fmac_f64_e32 v[18:19], v[34:35], v[34:35]
	v_cmp_ngt_f64_e32 vcc_lo, 0x3fd00000, v[18:19]
                                        ; implicit-def: $vgpr20_vgpr21
	s_and_saveexec_b32 s22, vcc_lo
	s_delay_alu instid0(SALU_CYCLE_1)
	s_xor_b32 s22, exec_lo, s22
	s_cbranch_execz .LBB8_10
; %bb.9:                                ;   in Loop: Header=BB8_4 Depth=1
	v_add_f64_e64 v[18:19], -v[36:37], 0
	v_add_f64_e64 v[20:21], -v[34:35], 1.0
                                        ; implicit-def: $vgpr38_vgpr39
	s_delay_alu instid0(VALU_DEP_2) | instskip(SKIP_1) | instid1(VALU_DEP_2)
	v_mul_f64_e32 v[34:35], v[46:47], v[18:19]
	v_mul_f64_e32 v[36:37], v[48:49], v[18:19]
	v_fma_f64 v[18:19], v[48:49], v[20:21], -v[34:35]
	s_delay_alu instid0(VALU_DEP_2) | instskip(NEXT) | instid1(VALU_DEP_2)
	v_fmac_f64_e32 v[36:37], v[46:47], v[20:21]
                                        ; implicit-def: $vgpr46_vgpr47
                                        ; implicit-def: $vgpr48_vgpr49
	v_add_f64_e64 v[18:19], v[42:43], -v[18:19]
	s_delay_alu instid0(VALU_DEP_2)
	v_add_f64_e64 v[20:21], v[44:45], -v[36:37]
                                        ; implicit-def: $vgpr36_vgpr37
.LBB8_10:                               ;   in Loop: Header=BB8_4 Depth=1
	s_and_not1_saveexec_b32 s22, s22
	s_cbranch_execz .LBB8_12
; %bb.11:                               ;   in Loop: Header=BB8_4 Depth=1
	s_delay_alu instid0(VALU_DEP_3) | instskip(SKIP_1) | instid1(VALU_DEP_2)
	v_mul_f64_e32 v[18:19], v[46:47], v[36:37]
	v_mul_f64_e32 v[20:21], v[48:49], v[36:37]
	v_fma_f64 v[18:19], v[48:49], v[34:35], -v[18:19]
	s_delay_alu instid0(VALU_DEP_2) | instskip(NEXT) | instid1(VALU_DEP_2)
	v_fmac_f64_e32 v[20:21], v[46:47], v[34:35]
	v_add_f64_e32 v[18:19], v[38:39], v[18:19]
	s_delay_alu instid0(VALU_DEP_2)
	v_add_f64_e32 v[20:21], v[40:41], v[20:21]
.LBB8_12:                               ;   in Loop: Header=BB8_4 Depth=1
	s_or_b32 exec_lo, exec_lo, s22
	s_wait_loadcnt 0x0
	v_mul_f64_e32 v[34:35], v[24:25], v[24:25]
	v_add_f64_e64 v[40:41], v[30:31], -v[26:27]
	v_add_f64_e64 v[38:39], v[32:33], -v[28:29]
	s_delay_alu instid0(VALU_DEP_3) | instskip(NEXT) | instid1(VALU_DEP_1)
	v_fmac_f64_e32 v[34:35], v[22:23], v[22:23]
	v_cmp_ngt_f64_e32 vcc_lo, 0x3fd00000, v[34:35]
                                        ; implicit-def: $vgpr36_vgpr37
	s_and_saveexec_b32 s22, vcc_lo
	s_delay_alu instid0(SALU_CYCLE_1)
	s_xor_b32 s22, exec_lo, s22
	s_cbranch_execz .LBB8_14
; %bb.13:                               ;   in Loop: Header=BB8_4 Depth=1
	v_add_f64_e64 v[24:25], -v[24:25], 0
	v_add_f64_e64 v[22:23], -v[22:23], 1.0
	s_delay_alu instid0(VALU_DEP_2) | instskip(SKIP_1) | instid1(VALU_DEP_2)
	v_mul_f64_e32 v[26:27], v[38:39], v[24:25]
	v_mul_f64_e32 v[24:25], v[40:41], v[24:25]
	v_fma_f64 v[26:27], v[40:41], v[22:23], -v[26:27]
	s_delay_alu instid0(VALU_DEP_2) | instskip(NEXT) | instid1(VALU_DEP_2)
	v_fmac_f64_e32 v[24:25], v[38:39], v[22:23]
                                        ; implicit-def: $vgpr38_vgpr39
                                        ; implicit-def: $vgpr40_vgpr41
	v_add_f64_e64 v[34:35], v[30:31], -v[26:27]
	s_delay_alu instid0(VALU_DEP_2)
	v_add_f64_e64 v[36:37], v[32:33], -v[24:25]
                                        ; implicit-def: $vgpr24_vgpr25
                                        ; implicit-def: $vgpr26_vgpr27
.LBB8_14:                               ;   in Loop: Header=BB8_4 Depth=1
	s_and_not1_saveexec_b32 s22, s22
	s_cbranch_execz .LBB8_16
; %bb.15:                               ;   in Loop: Header=BB8_4 Depth=1
	s_delay_alu instid0(VALU_DEP_3) | instskip(SKIP_1) | instid1(VALU_DEP_2)
	v_mul_f64_e32 v[30:31], v[38:39], v[24:25]
	v_mul_f64_e32 v[24:25], v[40:41], v[24:25]
	v_fma_f64 v[30:31], v[40:41], v[22:23], -v[30:31]
	s_delay_alu instid0(VALU_DEP_2) | instskip(NEXT) | instid1(VALU_DEP_2)
	v_fmac_f64_e32 v[24:25], v[38:39], v[22:23]
	v_add_f64_e32 v[34:35], v[26:27], v[30:31]
	s_delay_alu instid0(VALU_DEP_2)
	v_add_f64_e32 v[36:37], v[28:29], v[24:25]
.LBB8_16:                               ;   in Loop: Header=BB8_4 Depth=1
	s_or_b32 exec_lo, exec_lo, s22
	v_mul_f64_e32 v[22:23], v[8:9], v[8:9]
	v_add_f64_e64 v[28:29], v[14:15], -v[10:11]
	v_add_f64_e64 v[26:27], v[16:17], -v[12:13]
	s_delay_alu instid0(VALU_DEP_3) | instskip(NEXT) | instid1(VALU_DEP_1)
	v_fmac_f64_e32 v[22:23], v[6:7], v[6:7]
	v_cmp_ngt_f64_e32 vcc_lo, 0x3fd00000, v[22:23]
                                        ; implicit-def: $vgpr24_vgpr25
	s_and_saveexec_b32 s22, vcc_lo
	s_delay_alu instid0(SALU_CYCLE_1)
	s_xor_b32 s22, exec_lo, s22
	s_cbranch_execz .LBB8_18
; %bb.17:                               ;   in Loop: Header=BB8_4 Depth=1
	v_add_f64_e64 v[8:9], -v[8:9], 0
	v_add_f64_e64 v[6:7], -v[6:7], 1.0
	s_delay_alu instid0(VALU_DEP_2) | instskip(SKIP_1) | instid1(VALU_DEP_2)
	v_mul_f64_e32 v[10:11], v[26:27], v[8:9]
	v_mul_f64_e32 v[8:9], v[28:29], v[8:9]
	v_fma_f64 v[10:11], v[28:29], v[6:7], -v[10:11]
	s_delay_alu instid0(VALU_DEP_2) | instskip(NEXT) | instid1(VALU_DEP_2)
	v_fmac_f64_e32 v[8:9], v[26:27], v[6:7]
                                        ; implicit-def: $vgpr26_vgpr27
                                        ; implicit-def: $vgpr28_vgpr29
	v_add_f64_e64 v[22:23], v[14:15], -v[10:11]
	s_delay_alu instid0(VALU_DEP_2)
	v_add_f64_e64 v[24:25], v[16:17], -v[8:9]
                                        ; implicit-def: $vgpr8_vgpr9
                                        ; implicit-def: $vgpr10_vgpr11
.LBB8_18:                               ;   in Loop: Header=BB8_4 Depth=1
	s_and_not1_saveexec_b32 s22, s22
	s_cbranch_execz .LBB8_3
; %bb.19:                               ;   in Loop: Header=BB8_4 Depth=1
	s_delay_alu instid0(VALU_DEP_3) | instskip(SKIP_1) | instid1(VALU_DEP_2)
	v_mul_f64_e32 v[14:15], v[26:27], v[8:9]
	v_mul_f64_e32 v[8:9], v[28:29], v[8:9]
	v_fma_f64 v[14:15], v[28:29], v[6:7], -v[14:15]
	s_delay_alu instid0(VALU_DEP_2) | instskip(NEXT) | instid1(VALU_DEP_2)
	v_fmac_f64_e32 v[8:9], v[26:27], v[6:7]
	v_add_f64_e32 v[22:23], v[10:11], v[14:15]
	s_delay_alu instid0(VALU_DEP_2)
	v_add_f64_e32 v[24:25], v[12:13], v[8:9]
	s_branch .LBB8_3
.LBB8_20:
	s_or_b32 exec_lo, exec_lo, s20
	s_mov_b32 s10, 0
.LBB8_21:
	s_delay_alu instid0(SALU_CYCLE_1)
	s_and_not1_b32 vcc_lo, exec_lo, s10
	s_cbranch_vccnz .LBB8_65
; %bb.22:
	v_cmp_lt_i64_e64 s10, s[2:3], 1
	s_and_b32 vcc_lo, exec_lo, s10
	s_cbranch_vccnz .LBB8_65
; %bb.23:
	v_min_i64 v[54:55], 0x10000, s[2:3]
	v_min_u64 v[56:57], 0x10000, s[2:3]
	s_load_b32 s0, s[0:1], 0xc5c
	v_mov_b32_e32 v1, 0
	s_mov_b32 s11, 0
	s_mov_b64 s[18:19], 0
	s_mov_b32 s13, s11
	s_mov_b32 s15, s11
	;; [unrolled: 1-line block ×3, first 2 shown]
	s_wait_kmcnt 0x0
	s_and_b32 s10, s0, 0xffff
	s_delay_alu instid0(SALU_CYCLE_1)
	s_lshl_b32 s12, s10, 1
	s_mul_i32 s14, s10, 3
	s_lshl_b32 s16, s10, 2
	s_branch .LBB8_25
.LBB8_24:                               ;   in Loop: Header=BB8_25 Depth=1
	s_wait_xcnt 0x0
	s_or_b32 exec_lo, exec_lo, s0
	s_add_nc_u64 s[18:19], s[18:19], s[16:17]
	s_delay_alu instid0(SALU_CYCLE_1)
	v_cmp_ge_i64_e32 vcc_lo, s[18:19], v[54:55]
	s_cbranch_vccnz .LBB8_65
.LBB8_25:                               ; =>This Inner Loop Header: Depth=1
	v_add_nc_u64_e32 v[58:59], s[18:19], v[0:1]
	v_mov_b64_e32 v[24:25], 0
	v_mov_b64_e32 v[48:49], 0
	v_mov_b64_e32 v[46:47], 0
	v_mov_b64_e32 v[32:33], 0
	v_mov_b64_e32 v[30:31], 0
	v_cmp_lt_u64_e32 vcc_lo, v[58:59], v[56:57]
	s_and_saveexec_b32 s0, vcc_lo
	s_cbranch_execz .LBB8_27
; %bb.26:                               ;   in Loop: Header=BB8_25 Depth=1
	v_lshlrev_b64_e32 v[2:3], 4, v[58:59]
	s_delay_alu instid0(VALU_DEP_1)
	v_add_nc_u64_e32 v[4:5], s[8:9], v[2:3]
	v_add_nc_u64_e32 v[2:3], s[4:5], v[2:3]
	global_load_b128 v[30:33], v[4:5], off
	global_load_b128 v[46:49], v[2:3], off
.LBB8_27:                               ;   in Loop: Header=BB8_25 Depth=1
	s_wait_xcnt 0x0
	s_or_b32 exec_lo, exec_lo, s0
	v_mov_b64_e32 v[22:23], 0
	s_and_saveexec_b32 s0, vcc_lo
	s_cbranch_execz .LBB8_29
; %bb.28:                               ;   in Loop: Header=BB8_25 Depth=1
	v_lshl_add_u64 v[2:3], v[58:59], 4, s[6:7]
	global_load_b128 v[22:25], v[2:3], off
.LBB8_29:                               ;   in Loop: Header=BB8_25 Depth=1
	s_wait_xcnt 0x0
	s_or_b32 exec_lo, exec_lo, s0
	v_add_nc_u64_e32 v[60:61], s[10:11], v[58:59]
	v_mov_b64_e32 v[16:17], 0
	v_mov_b64_e32 v[44:45], 0
	v_mov_b64_e32 v[42:43], 0
	v_mov_b64_e32 v[28:29], 0
	v_mov_b64_e32 v[26:27], 0
	v_cmp_lt_u64_e64 s0, v[60:61], v[56:57]
	s_and_saveexec_b32 s1, s0
	s_cbranch_execz .LBB8_31
; %bb.30:                               ;   in Loop: Header=BB8_25 Depth=1
	v_lshlrev_b64_e32 v[2:3], 4, v[60:61]
	s_delay_alu instid0(VALU_DEP_1)
	v_add_nc_u64_e32 v[4:5], s[8:9], v[2:3]
	v_add_nc_u64_e32 v[2:3], s[4:5], v[2:3]
	global_load_b128 v[26:29], v[4:5], off
	global_load_b128 v[42:45], v[2:3], off
.LBB8_31:                               ;   in Loop: Header=BB8_25 Depth=1
	s_wait_xcnt 0x0
	s_or_b32 exec_lo, exec_lo, s1
	v_mov_b64_e32 v[14:15], 0
	s_and_saveexec_b32 s1, s0
	s_cbranch_execz .LBB8_33
; %bb.32:                               ;   in Loop: Header=BB8_25 Depth=1
	v_lshl_add_u64 v[2:3], v[60:61], 4, s[6:7]
	global_load_b128 v[14:17], v[2:3], off
.LBB8_33:                               ;   in Loop: Header=BB8_25 Depth=1
	s_wait_xcnt 0x0
	s_or_b32 exec_lo, exec_lo, s1
	v_add_nc_u64_e32 v[62:63], s[12:13], v[58:59]
	v_mov_b64_e32 v[8:9], 0
	v_mov_b64_e32 v[40:41], 0
	v_mov_b64_e32 v[38:39], 0
	v_mov_b64_e32 v[20:21], 0
	v_mov_b64_e32 v[18:19], 0
	v_cmp_lt_u64_e64 s1, v[62:63], v[56:57]
	s_and_saveexec_b32 s2, s1
	s_cbranch_execz .LBB8_35
; %bb.34:                               ;   in Loop: Header=BB8_25 Depth=1
	v_lshlrev_b64_e32 v[2:3], 4, v[62:63]
	s_delay_alu instid0(VALU_DEP_1)
	v_add_nc_u64_e32 v[4:5], s[8:9], v[2:3]
	v_add_nc_u64_e32 v[2:3], s[4:5], v[2:3]
	global_load_b128 v[18:21], v[4:5], off
	global_load_b128 v[38:41], v[2:3], off
.LBB8_35:                               ;   in Loop: Header=BB8_25 Depth=1
	s_wait_xcnt 0x0
	s_or_b32 exec_lo, exec_lo, s2
	v_mov_b64_e32 v[6:7], 0
	s_and_saveexec_b32 s2, s1
	;; [unrolled: 28-line block ×3, first 2 shown]
	s_cbranch_execz .LBB8_41
; %bb.40:                               ;   in Loop: Header=BB8_25 Depth=1
	v_lshl_add_u64 v[2:3], v[64:65], 4, s[6:7]
	global_load_b128 v[2:5], v[2:3], off
.LBB8_41:                               ;   in Loop: Header=BB8_25 Depth=1
	s_wait_xcnt 0x0
	s_or_b32 exec_lo, exec_lo, s3
	s_wait_loadcnt 0x0
	v_mul_f64_e32 v[50:51], v[22:23], v[22:23]
	v_add_f64_e64 v[66:67], v[46:47], -v[30:31]
	v_add_f64_e64 v[68:69], v[48:49], -v[32:33]
	s_delay_alu instid0(VALU_DEP_3) | instskip(NEXT) | instid1(VALU_DEP_1)
	v_fmac_f64_e32 v[50:51], v[24:25], v[24:25]
	v_cmp_ngt_f64_e64 s3, 0x3fd00000, v[50:51]
                                        ; implicit-def: $vgpr52_vgpr53
	s_and_saveexec_b32 s20, s3
	s_delay_alu instid0(SALU_CYCLE_1)
	s_xor_b32 s3, exec_lo, s20
	s_cbranch_execz .LBB8_43
; %bb.42:                               ;   in Loop: Header=BB8_25 Depth=1
	v_add_f64_e64 v[24:25], -v[24:25], 0
	v_add_f64_e64 v[22:23], -v[22:23], 1.0
	s_delay_alu instid0(VALU_DEP_2) | instskip(NEXT) | instid1(VALU_DEP_2)
	v_mul_f64_e32 v[30:31], v[68:69], v[24:25]
	v_mul_f64_e32 v[32:33], v[68:69], v[22:23]
                                        ; implicit-def: $vgpr68_vgpr69
	s_delay_alu instid0(VALU_DEP_2) | instskip(NEXT) | instid1(VALU_DEP_2)
	v_fma_f64 v[22:23], v[66:67], v[22:23], -v[30:31]
	v_fmac_f64_e32 v[32:33], v[66:67], v[24:25]
                                        ; implicit-def: $vgpr66_vgpr67
	s_delay_alu instid0(VALU_DEP_2) | instskip(NEXT) | instid1(VALU_DEP_2)
	v_add_f64_e64 v[50:51], v[46:47], -v[22:23]
	v_add_f64_e64 v[52:53], v[48:49], -v[32:33]
                                        ; implicit-def: $vgpr24_vgpr25
                                        ; implicit-def: $vgpr30_vgpr31
.LBB8_43:                               ;   in Loop: Header=BB8_25 Depth=1
	s_and_not1_saveexec_b32 s3, s3
	s_cbranch_execz .LBB8_45
; %bb.44:                               ;   in Loop: Header=BB8_25 Depth=1
	v_mul_f64_e32 v[46:47], v[68:69], v[24:25]
	v_mul_f64_e32 v[48:49], v[68:69], v[22:23]
	s_delay_alu instid0(VALU_DEP_2) | instskip(NEXT) | instid1(VALU_DEP_2)
	v_fma_f64 v[22:23], v[66:67], v[22:23], -v[46:47]
	v_fmac_f64_e32 v[48:49], v[66:67], v[24:25]
	s_delay_alu instid0(VALU_DEP_2) | instskip(NEXT) | instid1(VALU_DEP_2)
	v_add_f64_e32 v[50:51], v[30:31], v[22:23]
	v_add_f64_e32 v[52:53], v[32:33], v[48:49]
.LBB8_45:                               ;   in Loop: Header=BB8_25 Depth=1
	s_or_b32 exec_lo, exec_lo, s3
	v_mul_f64_e32 v[22:23], v[14:15], v[14:15]
	v_add_f64_e64 v[30:31], v[42:43], -v[26:27]
	v_add_f64_e64 v[32:33], v[44:45], -v[28:29]
	s_delay_alu instid0(VALU_DEP_3) | instskip(NEXT) | instid1(VALU_DEP_1)
	v_fmac_f64_e32 v[22:23], v[16:17], v[16:17]
	v_cmp_ngt_f64_e64 s3, 0x3fd00000, v[22:23]
                                        ; implicit-def: $vgpr24_vgpr25
	s_and_saveexec_b32 s20, s3
	s_delay_alu instid0(SALU_CYCLE_1)
	s_xor_b32 s3, exec_lo, s20
	s_cbranch_execz .LBB8_47
; %bb.46:                               ;   in Loop: Header=BB8_25 Depth=1
	v_add_f64_e64 v[16:17], -v[16:17], 0
	v_add_f64_e64 v[14:15], -v[14:15], 1.0
                                        ; implicit-def: $vgpr26_vgpr27
	s_delay_alu instid0(VALU_DEP_2) | instskip(NEXT) | instid1(VALU_DEP_2)
	v_mul_f64_e32 v[22:23], v[32:33], v[16:17]
	v_mul_f64_e32 v[24:25], v[32:33], v[14:15]
                                        ; implicit-def: $vgpr32_vgpr33
	s_delay_alu instid0(VALU_DEP_2) | instskip(NEXT) | instid1(VALU_DEP_2)
	v_fma_f64 v[14:15], v[30:31], v[14:15], -v[22:23]
	v_fmac_f64_e32 v[24:25], v[30:31], v[16:17]
                                        ; implicit-def: $vgpr30_vgpr31
	s_delay_alu instid0(VALU_DEP_2) | instskip(NEXT) | instid1(VALU_DEP_2)
	v_add_f64_e64 v[22:23], v[42:43], -v[14:15]
	v_add_f64_e64 v[24:25], v[44:45], -v[24:25]
                                        ; implicit-def: $vgpr16_vgpr17
.LBB8_47:                               ;   in Loop: Header=BB8_25 Depth=1
	s_and_not1_saveexec_b32 s3, s3
	s_cbranch_execz .LBB8_49
; %bb.48:                               ;   in Loop: Header=BB8_25 Depth=1
	v_mul_f64_e32 v[22:23], v[32:33], v[16:17]
	v_mul_f64_e32 v[24:25], v[32:33], v[14:15]
	s_delay_alu instid0(VALU_DEP_2) | instskip(NEXT) | instid1(VALU_DEP_2)
	v_fma_f64 v[14:15], v[30:31], v[14:15], -v[22:23]
	v_fmac_f64_e32 v[24:25], v[30:31], v[16:17]
	s_delay_alu instid0(VALU_DEP_2) | instskip(NEXT) | instid1(VALU_DEP_2)
	v_add_f64_e32 v[22:23], v[26:27], v[14:15]
	v_add_f64_e32 v[24:25], v[28:29], v[24:25]
.LBB8_49:                               ;   in Loop: Header=BB8_25 Depth=1
	s_or_b32 exec_lo, exec_lo, s3
	v_mul_f64_e32 v[14:15], v[6:7], v[6:7]
	v_add_f64_e64 v[26:27], v[38:39], -v[18:19]
	v_add_f64_e64 v[28:29], v[40:41], -v[20:21]
	s_delay_alu instid0(VALU_DEP_3) | instskip(NEXT) | instid1(VALU_DEP_1)
	v_fmac_f64_e32 v[14:15], v[8:9], v[8:9]
	v_cmp_ngt_f64_e64 s3, 0x3fd00000, v[14:15]
                                        ; implicit-def: $vgpr16_vgpr17
	s_and_saveexec_b32 s20, s3
	s_delay_alu instid0(SALU_CYCLE_1)
	s_xor_b32 s3, exec_lo, s20
	s_cbranch_execz .LBB8_51
; %bb.50:                               ;   in Loop: Header=BB8_25 Depth=1
	v_add_f64_e64 v[8:9], -v[8:9], 0
	v_add_f64_e64 v[6:7], -v[6:7], 1.0
                                        ; implicit-def: $vgpr18_vgpr19
	s_delay_alu instid0(VALU_DEP_2) | instskip(NEXT) | instid1(VALU_DEP_2)
	v_mul_f64_e32 v[14:15], v[28:29], v[8:9]
	v_mul_f64_e32 v[16:17], v[28:29], v[6:7]
                                        ; implicit-def: $vgpr28_vgpr29
	s_delay_alu instid0(VALU_DEP_2) | instskip(NEXT) | instid1(VALU_DEP_2)
	v_fma_f64 v[6:7], v[26:27], v[6:7], -v[14:15]
	v_fmac_f64_e32 v[16:17], v[26:27], v[8:9]
                                        ; implicit-def: $vgpr26_vgpr27
	s_delay_alu instid0(VALU_DEP_2) | instskip(NEXT) | instid1(VALU_DEP_2)
	v_add_f64_e64 v[14:15], v[38:39], -v[6:7]
	v_add_f64_e64 v[16:17], v[40:41], -v[16:17]
                                        ; implicit-def: $vgpr8_vgpr9
.LBB8_51:                               ;   in Loop: Header=BB8_25 Depth=1
	s_and_not1_saveexec_b32 s3, s3
	s_cbranch_execz .LBB8_53
; %bb.52:                               ;   in Loop: Header=BB8_25 Depth=1
	v_mul_f64_e32 v[14:15], v[28:29], v[8:9]
	v_mul_f64_e32 v[16:17], v[28:29], v[6:7]
	s_delay_alu instid0(VALU_DEP_2) | instskip(NEXT) | instid1(VALU_DEP_2)
	v_fma_f64 v[6:7], v[26:27], v[6:7], -v[14:15]
	v_fmac_f64_e32 v[16:17], v[26:27], v[8:9]
	s_delay_alu instid0(VALU_DEP_2) | instskip(NEXT) | instid1(VALU_DEP_2)
	v_add_f64_e32 v[14:15], v[18:19], v[6:7]
	v_add_f64_e32 v[16:17], v[20:21], v[16:17]
.LBB8_53:                               ;   in Loop: Header=BB8_25 Depth=1
	s_or_b32 exec_lo, exec_lo, s3
	v_mul_f64_e32 v[6:7], v[2:3], v[2:3]
	v_add_f64_e64 v[18:19], v[34:35], -v[10:11]
	v_add_f64_e64 v[20:21], v[36:37], -v[12:13]
	s_delay_alu instid0(VALU_DEP_3) | instskip(NEXT) | instid1(VALU_DEP_1)
	v_fmac_f64_e32 v[6:7], v[4:5], v[4:5]
	v_cmp_ngt_f64_e64 s3, 0x3fd00000, v[6:7]
                                        ; implicit-def: $vgpr8_vgpr9
	s_and_saveexec_b32 s20, s3
	s_delay_alu instid0(SALU_CYCLE_1)
	s_xor_b32 s3, exec_lo, s20
	s_cbranch_execnz .LBB8_59
; %bb.54:                               ;   in Loop: Header=BB8_25 Depth=1
	s_and_not1_saveexec_b32 s3, s3
	s_cbranch_execnz .LBB8_60
.LBB8_55:                               ;   in Loop: Header=BB8_25 Depth=1
	s_or_b32 exec_lo, exec_lo, s3
	s_and_saveexec_b32 s3, vcc_lo
	s_delay_alu instid0(SALU_CYCLE_1)
	s_xor_b32 s3, exec_lo, s3
	s_cbranch_execnz .LBB8_61
.LBB8_56:                               ;   in Loop: Header=BB8_25 Depth=1
	s_or_b32 exec_lo, exec_lo, s3
	s_and_saveexec_b32 s3, s0
	s_cbranch_execnz .LBB8_62
.LBB8_57:                               ;   in Loop: Header=BB8_25 Depth=1
	s_or_b32 exec_lo, exec_lo, s3
	s_and_saveexec_b32 s0, s1
	s_cbranch_execnz .LBB8_63
.LBB8_58:                               ;   in Loop: Header=BB8_25 Depth=1
	s_or_b32 exec_lo, exec_lo, s0
	s_and_saveexec_b32 s0, s2
	s_cbranch_execz .LBB8_24
	s_branch .LBB8_64
.LBB8_59:                               ;   in Loop: Header=BB8_25 Depth=1
	v_add_f64_e64 v[4:5], -v[4:5], 0
	v_add_f64_e64 v[2:3], -v[2:3], 1.0
                                        ; implicit-def: $vgpr10_vgpr11
	s_delay_alu instid0(VALU_DEP_2) | instskip(NEXT) | instid1(VALU_DEP_2)
	v_mul_f64_e32 v[6:7], v[20:21], v[4:5]
	v_mul_f64_e32 v[8:9], v[20:21], v[2:3]
                                        ; implicit-def: $vgpr20_vgpr21
	s_delay_alu instid0(VALU_DEP_2) | instskip(NEXT) | instid1(VALU_DEP_2)
	v_fma_f64 v[2:3], v[18:19], v[2:3], -v[6:7]
	v_fmac_f64_e32 v[8:9], v[18:19], v[4:5]
                                        ; implicit-def: $vgpr18_vgpr19
	s_delay_alu instid0(VALU_DEP_2) | instskip(NEXT) | instid1(VALU_DEP_2)
	v_add_f64_e64 v[6:7], v[34:35], -v[2:3]
	v_add_f64_e64 v[8:9], v[36:37], -v[8:9]
                                        ; implicit-def: $vgpr4_vgpr5
	s_and_not1_saveexec_b32 s3, s3
	s_cbranch_execz .LBB8_55
.LBB8_60:                               ;   in Loop: Header=BB8_25 Depth=1
	v_mul_f64_e32 v[6:7], v[20:21], v[4:5]
	v_mul_f64_e32 v[8:9], v[20:21], v[2:3]
	s_delay_alu instid0(VALU_DEP_2) | instskip(NEXT) | instid1(VALU_DEP_2)
	v_fma_f64 v[2:3], v[18:19], v[2:3], -v[6:7]
	v_fmac_f64_e32 v[8:9], v[18:19], v[4:5]
	s_delay_alu instid0(VALU_DEP_2) | instskip(NEXT) | instid1(VALU_DEP_2)
	v_add_f64_e32 v[6:7], v[10:11], v[2:3]
	v_add_f64_e32 v[8:9], v[12:13], v[8:9]
	s_or_b32 exec_lo, exec_lo, s3
	s_and_saveexec_b32 s3, vcc_lo
	s_delay_alu instid0(SALU_CYCLE_1)
	s_xor_b32 s3, exec_lo, s3
	s_cbranch_execz .LBB8_56
.LBB8_61:                               ;   in Loop: Header=BB8_25 Depth=1
	v_lshl_add_u64 v[2:3], v[58:59], 4, s[8:9]
	global_store_b128 v[2:3], v[50:53], off
	s_wait_xcnt 0x0
	s_or_b32 exec_lo, exec_lo, s3
	s_and_saveexec_b32 s3, s0
	s_cbranch_execz .LBB8_57
.LBB8_62:                               ;   in Loop: Header=BB8_25 Depth=1
	v_lshl_add_u64 v[2:3], v[60:61], 4, s[8:9]
	global_store_b128 v[2:3], v[22:25], off
	s_wait_xcnt 0x0
	s_or_b32 exec_lo, exec_lo, s3
	s_and_saveexec_b32 s0, s1
	s_cbranch_execz .LBB8_58
.LBB8_63:                               ;   in Loop: Header=BB8_25 Depth=1
	v_lshl_add_u64 v[2:3], v[62:63], 4, s[8:9]
	global_store_b128 v[2:3], v[14:17], off
	s_wait_xcnt 0x0
	s_or_b32 exec_lo, exec_lo, s0
	s_and_saveexec_b32 s0, s2
	s_cbranch_execz .LBB8_24
.LBB8_64:                               ;   in Loop: Header=BB8_25 Depth=1
	v_lshl_add_u64 v[2:3], v[64:65], 4, s[8:9]
	global_store_b128 v[2:3], v[6:9], off
	s_branch .LBB8_24
.LBB8_65:
	s_sendmsg sendmsg(MSG_DEALLOC_VGPRS)
	s_endpgm
	.section	.rodata,"a",@progbits
	.p2align	6, 0x0
	.amdhsa_kernel _ZN2at6native12_GLOBAL__N_125multi_tensor_apply_kernelINS1_18TensorListMetadataILi3EEENS1_20TernaryOpListFunctorIN3c107complexIdEELi3ELi3ELi0EEEJNS0_11LerpFunctorIS8_EEEEEvT_T0_DpT1_
		.amdhsa_group_segment_fixed_size 0
		.amdhsa_private_segment_fixed_size 0
		.amdhsa_kernarg_size 3408
		.amdhsa_user_sgpr_count 2
		.amdhsa_user_sgpr_dispatch_ptr 0
		.amdhsa_user_sgpr_queue_ptr 0
		.amdhsa_user_sgpr_kernarg_segment_ptr 1
		.amdhsa_user_sgpr_dispatch_id 0
		.amdhsa_user_sgpr_kernarg_preload_length 0
		.amdhsa_user_sgpr_kernarg_preload_offset 0
		.amdhsa_user_sgpr_private_segment_size 0
		.amdhsa_wavefront_size32 1
		.amdhsa_uses_dynamic_stack 0
		.amdhsa_enable_private_segment 0
		.amdhsa_system_sgpr_workgroup_id_x 1
		.amdhsa_system_sgpr_workgroup_id_y 0
		.amdhsa_system_sgpr_workgroup_id_z 0
		.amdhsa_system_sgpr_workgroup_info 0
		.amdhsa_system_vgpr_workitem_id 0
		.amdhsa_next_free_vgpr 70
		.amdhsa_next_free_sgpr 23
		.amdhsa_named_barrier_count 0
		.amdhsa_reserve_vcc 1
		.amdhsa_float_round_mode_32 0
		.amdhsa_float_round_mode_16_64 0
		.amdhsa_float_denorm_mode_32 3
		.amdhsa_float_denorm_mode_16_64 3
		.amdhsa_fp16_overflow 0
		.amdhsa_memory_ordered 1
		.amdhsa_forward_progress 1
		.amdhsa_inst_pref_size 23
		.amdhsa_round_robin_scheduling 0
		.amdhsa_exception_fp_ieee_invalid_op 0
		.amdhsa_exception_fp_denorm_src 0
		.amdhsa_exception_fp_ieee_div_zero 0
		.amdhsa_exception_fp_ieee_overflow 0
		.amdhsa_exception_fp_ieee_underflow 0
		.amdhsa_exception_fp_ieee_inexact 0
		.amdhsa_exception_int_div_zero 0
	.end_amdhsa_kernel
	.section	.text._ZN2at6native12_GLOBAL__N_125multi_tensor_apply_kernelINS1_18TensorListMetadataILi3EEENS1_20TernaryOpListFunctorIN3c107complexIdEELi3ELi3ELi0EEEJNS0_11LerpFunctorIS8_EEEEEvT_T0_DpT1_,"axG",@progbits,_ZN2at6native12_GLOBAL__N_125multi_tensor_apply_kernelINS1_18TensorListMetadataILi3EEENS1_20TernaryOpListFunctorIN3c107complexIdEELi3ELi3ELi0EEEJNS0_11LerpFunctorIS8_EEEEEvT_T0_DpT1_,comdat
.Lfunc_end8:
	.size	_ZN2at6native12_GLOBAL__N_125multi_tensor_apply_kernelINS1_18TensorListMetadataILi3EEENS1_20TernaryOpListFunctorIN3c107complexIdEELi3ELi3ELi0EEEJNS0_11LerpFunctorIS8_EEEEEvT_T0_DpT1_, .Lfunc_end8-_ZN2at6native12_GLOBAL__N_125multi_tensor_apply_kernelINS1_18TensorListMetadataILi3EEENS1_20TernaryOpListFunctorIN3c107complexIdEELi3ELi3ELi0EEEJNS0_11LerpFunctorIS8_EEEEEvT_T0_DpT1_
                                        ; -- End function
	.set _ZN2at6native12_GLOBAL__N_125multi_tensor_apply_kernelINS1_18TensorListMetadataILi3EEENS1_20TernaryOpListFunctorIN3c107complexIdEELi3ELi3ELi0EEEJNS0_11LerpFunctorIS8_EEEEEvT_T0_DpT1_.num_vgpr, 70
	.set _ZN2at6native12_GLOBAL__N_125multi_tensor_apply_kernelINS1_18TensorListMetadataILi3EEENS1_20TernaryOpListFunctorIN3c107complexIdEELi3ELi3ELi0EEEJNS0_11LerpFunctorIS8_EEEEEvT_T0_DpT1_.num_agpr, 0
	.set _ZN2at6native12_GLOBAL__N_125multi_tensor_apply_kernelINS1_18TensorListMetadataILi3EEENS1_20TernaryOpListFunctorIN3c107complexIdEELi3ELi3ELi0EEEJNS0_11LerpFunctorIS8_EEEEEvT_T0_DpT1_.numbered_sgpr, 23
	.set _ZN2at6native12_GLOBAL__N_125multi_tensor_apply_kernelINS1_18TensorListMetadataILi3EEENS1_20TernaryOpListFunctorIN3c107complexIdEELi3ELi3ELi0EEEJNS0_11LerpFunctorIS8_EEEEEvT_T0_DpT1_.num_named_barrier, 0
	.set _ZN2at6native12_GLOBAL__N_125multi_tensor_apply_kernelINS1_18TensorListMetadataILi3EEENS1_20TernaryOpListFunctorIN3c107complexIdEELi3ELi3ELi0EEEJNS0_11LerpFunctorIS8_EEEEEvT_T0_DpT1_.private_seg_size, 0
	.set _ZN2at6native12_GLOBAL__N_125multi_tensor_apply_kernelINS1_18TensorListMetadataILi3EEENS1_20TernaryOpListFunctorIN3c107complexIdEELi3ELi3ELi0EEEJNS0_11LerpFunctorIS8_EEEEEvT_T0_DpT1_.uses_vcc, 1
	.set _ZN2at6native12_GLOBAL__N_125multi_tensor_apply_kernelINS1_18TensorListMetadataILi3EEENS1_20TernaryOpListFunctorIN3c107complexIdEELi3ELi3ELi0EEEJNS0_11LerpFunctorIS8_EEEEEvT_T0_DpT1_.uses_flat_scratch, 0
	.set _ZN2at6native12_GLOBAL__N_125multi_tensor_apply_kernelINS1_18TensorListMetadataILi3EEENS1_20TernaryOpListFunctorIN3c107complexIdEELi3ELi3ELi0EEEJNS0_11LerpFunctorIS8_EEEEEvT_T0_DpT1_.has_dyn_sized_stack, 0
	.set _ZN2at6native12_GLOBAL__N_125multi_tensor_apply_kernelINS1_18TensorListMetadataILi3EEENS1_20TernaryOpListFunctorIN3c107complexIdEELi3ELi3ELi0EEEJNS0_11LerpFunctorIS8_EEEEEvT_T0_DpT1_.has_recursion, 0
	.set _ZN2at6native12_GLOBAL__N_125multi_tensor_apply_kernelINS1_18TensorListMetadataILi3EEENS1_20TernaryOpListFunctorIN3c107complexIdEELi3ELi3ELi0EEEJNS0_11LerpFunctorIS8_EEEEEvT_T0_DpT1_.has_indirect_call, 0
	.section	.AMDGPU.csdata,"",@progbits
; Kernel info:
; codeLenInByte = 2844
; TotalNumSgprs: 25
; NumVgprs: 70
; ScratchSize: 0
; MemoryBound: 1
; FloatMode: 240
; IeeeMode: 1
; LDSByteSize: 0 bytes/workgroup (compile time only)
; SGPRBlocks: 0
; VGPRBlocks: 4
; NumSGPRsForWavesPerEU: 25
; NumVGPRsForWavesPerEU: 70
; NamedBarCnt: 0
; Occupancy: 12
; WaveLimiterHint : 0
; COMPUTE_PGM_RSRC2:SCRATCH_EN: 0
; COMPUTE_PGM_RSRC2:USER_SGPR: 2
; COMPUTE_PGM_RSRC2:TRAP_HANDLER: 0
; COMPUTE_PGM_RSRC2:TGID_X_EN: 1
; COMPUTE_PGM_RSRC2:TGID_Y_EN: 0
; COMPUTE_PGM_RSRC2:TGID_Z_EN: 0
; COMPUTE_PGM_RSRC2:TIDIG_COMP_CNT: 0
	.section	.text._ZN2at6native12_GLOBAL__N_125multi_tensor_apply_kernelINS1_18TensorListMetadataILi3EEENS1_20TernaryOpListFunctorIN3c107complexIfEELi3ELi3ELi0EEEJNS0_11LerpFunctorIS8_EEEEEvT_T0_DpT1_,"axG",@progbits,_ZN2at6native12_GLOBAL__N_125multi_tensor_apply_kernelINS1_18TensorListMetadataILi3EEENS1_20TernaryOpListFunctorIN3c107complexIfEELi3ELi3ELi0EEEJNS0_11LerpFunctorIS8_EEEEEvT_T0_DpT1_,comdat
	.globl	_ZN2at6native12_GLOBAL__N_125multi_tensor_apply_kernelINS1_18TensorListMetadataILi3EEENS1_20TernaryOpListFunctorIN3c107complexIfEELi3ELi3ELi0EEEJNS0_11LerpFunctorIS8_EEEEEvT_T0_DpT1_ ; -- Begin function _ZN2at6native12_GLOBAL__N_125multi_tensor_apply_kernelINS1_18TensorListMetadataILi3EEENS1_20TernaryOpListFunctorIN3c107complexIfEELi3ELi3ELi0EEEJNS0_11LerpFunctorIS8_EEEEEvT_T0_DpT1_
	.p2align	8
	.type	_ZN2at6native12_GLOBAL__N_125multi_tensor_apply_kernelINS1_18TensorListMetadataILi3EEENS1_20TernaryOpListFunctorIN3c107complexIfEELi3ELi3ELi0EEEJNS0_11LerpFunctorIS8_EEEEEvT_T0_DpT1_,@function
_ZN2at6native12_GLOBAL__N_125multi_tensor_apply_kernelINS1_18TensorListMetadataILi3EEENS1_20TernaryOpListFunctorIN3c107complexIfEELi3ELi3ELi0EEEJNS0_11LerpFunctorIS8_EEEEEvT_T0_DpT1_: ; @_ZN2at6native12_GLOBAL__N_125multi_tensor_apply_kernelINS1_18TensorListMetadataILi3EEENS1_20TernaryOpListFunctorIN3c107complexIfEELi3ELi3ELi0EEEJNS0_11LerpFunctorIS8_EEEEEvT_T0_DpT1_
; %bb.0:
	s_bfe_u32 s2, ttmp6, 0x4000c
	s_and_b32 s3, ttmp6, 15
	s_add_co_i32 s2, s2, 1
	s_getreg_b32 s4, hwreg(HW_REG_IB_STS2, 6, 4)
	s_mul_i32 s2, ttmp9, s2
	s_mov_b32 s11, 0
	s_add_co_i32 s3, s3, s2
	s_cmp_eq_u32 s4, 0
	s_cselect_b32 s10, ttmp9, s3
	s_load_u8 s12, s[0:1], s10 offset:0x600
	s_add_nc_u64 s[2:3], s[0:1], s[10:11]
	s_mul_u64 s[4:5], s[10:11], 3
	s_delay_alu instid0(SALU_CYCLE_1)
	s_add_nc_u64 s[4:5], s[2:3], s[4:5]
	s_load_b32 s16, s[4:5], 0x740
	s_wait_kmcnt 0x0
	s_clause 0x3
	s_load_b64 s[2:3], s[0:1], s12 offset:0x180 scale_offset
	s_load_b64 s[6:7], s[0:1], s12 offset:0x300 scale_offset
	;; [unrolled: 1-line block ×4, first 2 shown]
	s_ashr_i32 s17, s16, 31
	s_delay_alu instid0(SALU_CYCLE_1)
	s_lshl_b64 s[4:5], s[16:17], 19
	s_lshl_b64 s[20:21], s[16:17], 16
	s_wait_kmcnt 0x0
	s_add_nc_u64 s[12:13], s[2:3], s[4:5]
	s_add_nc_u64 s[14:15], s[6:7], s[4:5]
	;; [unrolled: 1-line block ×3, first 2 shown]
	s_or_b32 s10, s14, s12
	s_and_b64 s[22:23], s[16:17], 31
	s_and_b32 s10, s10, 31
	s_delay_alu instid0(SALU_CYCLE_1) | instskip(SKIP_2) | instid1(SALU_CYCLE_1)
	s_cmp_lg_u32 s10, 0
	s_cselect_b32 s24, -1, 0
	s_and_b32 s10, s18, 3
	s_or_b64 s[10:11], s[22:23], s[10:11]
	s_delay_alu instid0(SALU_CYCLE_1) | instskip(SKIP_1) | instid1(SALU_CYCLE_1)
	s_cmp_lg_u64 s[10:11], 0
	s_cselect_b32 s10, -1, 0
	s_or_b32 s22, s24, s10
	s_sub_nc_u64 s[10:11], s[18:19], s[20:21]
	s_and_not1_b32 vcc_lo, exec_lo, s22
	s_mov_b32 s18, -1
	s_cbranch_vccz .LBB9_21
; %bb.1:
	v_min_i64 v[30:31], 0x10000, s[10:11]
	v_dual_mov_b32 v33, 0 :: v_dual_lshlrev_b32 v32, 2, v0
	s_mov_b32 s22, exec_lo
	s_delay_alu instid0(VALU_DEP_1)
	v_cmpx_lt_i64_e64 v[32:33], v[30:31]
	s_cbranch_execz .LBB9_20
; %bb.2:
	s_load_b32 s18, s[0:1], 0xc5c
	v_dual_mov_b32 v1, v33 :: v_dual_lshlrev_b32 v32, 5, v0
	s_mov_b32 s19, 0
	s_delay_alu instid0(SALU_CYCLE_1) | instskip(NEXT) | instid1(VALU_DEP_1)
	s_mov_b32 s21, s19
	v_mov_b64_e32 v[34:35], v[0:1]
	s_mov_b32 s23, s19
	s_wait_kmcnt 0x0
	s_and_b32 s18, s18, 0xffff
	s_delay_alu instid0(SALU_CYCLE_1)
	s_lshl_b32 s20, s18, 5
	s_branch .LBB9_4
.LBB9_3:                                ;   in Loop: Header=BB9_4 Depth=1
	s_or_b32 exec_lo, exec_lo, s24
	v_add_nc_u64_e32 v[34:35], s[18:19], v[34:35]
	s_add_nc_u64 s[14:15], s[14:15], s[20:21]
	s_add_nc_u64 s[16:17], s[16:17], s[20:21]
	;; [unrolled: 1-line block ×3, first 2 shown]
	s_clause 0x1
	global_store_b128 v[36:37], v[2:5], off
	global_store_b128 v[36:37], v[18:21], off offset:16
	v_lshlrev_b64_e32 v[6:7], 2, v[34:35]
	s_delay_alu instid0(VALU_DEP_1)
	v_cmp_ge_i64_e32 vcc_lo, v[6:7], v[30:31]
	s_or_b32 s23, vcc_lo, s23
	s_wait_xcnt 0x0
	s_and_not1_b32 exec_lo, exec_lo, s23
	s_cbranch_execz .LBB9_20
.LBB9_4:                                ; =>This Inner Loop Header: Depth=1
	v_add_nc_u64_e32 v[2:3], s[14:15], v[32:33]
	v_add_nc_u64_e32 v[36:37], s[16:17], v[32:33]
	;; [unrolled: 1-line block ×3, first 2 shown]
	s_mov_b32 s24, exec_lo
	global_load_b128 v[18:21], v[2:3], off
	global_load_b128 v[22:25], v[36:37], off
	global_load_b128 v[26:29], v[4:5], off
	global_load_b128 v[6:9], v[2:3], off offset:16
	global_load_b128 v[10:13], v[36:37], off offset:16
	;; [unrolled: 1-line block ×3, first 2 shown]
	s_wait_loadcnt 0x3
	s_wait_xcnt 0x0
	v_pk_add_f32 v[4:5], v[26:27], v[22:23] neg_lo:[0,1] neg_hi:[0,1]
	v_pk_mul_f32 v[2:3], v[18:19], v[18:19]
	s_delay_alu instid0(VALU_DEP_1) | instskip(NEXT) | instid1(VALU_DEP_1)
	v_add_f32_e32 v1, v2, v3
                                        ; implicit-def: $vgpr2_vgpr3
	v_cmpx_ngt_f32_e32 0x3e800000, v1
	s_xor_b32 s24, exec_lo, s24
; %bb.5:                                ;   in Loop: Header=BB9_4 Depth=1
	v_dual_sub_f32 v2, 0, v19 :: v_dual_sub_f32 v18, 1.0, v18
	s_delay_alu instid0(VALU_DEP_1) | instskip(NEXT) | instid1(VALU_DEP_1)
	v_pk_mul_f32 v[2:3], v[4:5], v[2:3] op_sel:[1,0] op_sel_hi:[0,0]
	v_pk_fma_f32 v[38:39], v[4:5], v[18:19], v[2:3] op_sel_hi:[1,0,1]
	v_pk_fma_f32 v[2:3], v[4:5], v[18:19], v[2:3] neg_lo:[0,0,1] neg_hi:[0,0,1]
                                        ; implicit-def: $vgpr4_vgpr5
	s_delay_alu instid0(VALU_DEP_2) | instskip(NEXT) | instid1(VALU_DEP_1)
	v_mov_b32_e32 v3, v39
	v_pk_add_f32 v[2:3], v[26:27], v[2:3] neg_lo:[0,1] neg_hi:[0,1]
; %bb.6:                                ;   in Loop: Header=BB9_4 Depth=1
	s_and_not1_saveexec_b32 s24, s24
; %bb.7:                                ;   in Loop: Header=BB9_4 Depth=1
	v_pk_mul_f32 v[2:3], v[4:5], v[18:19] op_sel:[1,1] op_sel_hi:[1,0]
	s_delay_alu instid0(VALU_DEP_1) | instskip(SKIP_1) | instid1(VALU_DEP_2)
	v_pk_fma_f32 v[26:27], v[4:5], v[18:19], v[2:3] op_sel_hi:[0,1,1]
	v_pk_fma_f32 v[2:3], v[4:5], v[18:19], v[2:3] neg_lo:[0,0,1] neg_hi:[0,0,1]
	v_mov_b32_e32 v3, v27
	s_delay_alu instid0(VALU_DEP_1)
	v_pk_add_f32 v[2:3], v[22:23], v[2:3]
; %bb.8:                                ;   in Loop: Header=BB9_4 Depth=1
	s_or_b32 exec_lo, exec_lo, s24
	v_pk_mul_f32 v[4:5], v[20:21], v[20:21]
	v_pk_add_f32 v[18:19], v[28:29], v[24:25] neg_lo:[0,1] neg_hi:[0,1]
	s_mov_b32 s24, exec_lo
	s_delay_alu instid0(VALU_DEP_2) | instskip(NEXT) | instid1(VALU_DEP_1)
	v_add_f32_e32 v1, v4, v5
	v_cmpx_ngt_f32_e32 0x3e800000, v1
	s_xor_b32 s24, exec_lo, s24
; %bb.9:                                ;   in Loop: Header=BB9_4 Depth=1
	v_dual_sub_f32 v4, 0, v21 :: v_dual_sub_f32 v20, 1.0, v20
                                        ; implicit-def: $vgpr24_vgpr25
	s_delay_alu instid0(VALU_DEP_1) | instskip(NEXT) | instid1(VALU_DEP_1)
	v_pk_mul_f32 v[4:5], v[18:19], v[4:5] op_sel:[1,0] op_sel_hi:[0,0]
	v_pk_fma_f32 v[22:23], v[18:19], v[20:21], v[4:5] op_sel_hi:[1,0,1]
	v_pk_fma_f32 v[4:5], v[18:19], v[20:21], v[4:5] neg_lo:[0,0,1] neg_hi:[0,0,1]
                                        ; implicit-def: $vgpr18_vgpr19
                                        ; implicit-def: $vgpr20_vgpr21
	s_delay_alu instid0(VALU_DEP_2) | instskip(NEXT) | instid1(VALU_DEP_1)
	v_mov_b32_e32 v5, v23
	v_pk_add_f32 v[4:5], v[28:29], v[4:5] neg_lo:[0,1] neg_hi:[0,1]
; %bb.10:                               ;   in Loop: Header=BB9_4 Depth=1
	s_and_not1_saveexec_b32 s24, s24
; %bb.11:                               ;   in Loop: Header=BB9_4 Depth=1
	v_pk_mul_f32 v[4:5], v[18:19], v[20:21] op_sel:[1,1] op_sel_hi:[1,0]
	s_delay_alu instid0(VALU_DEP_1) | instskip(SKIP_1) | instid1(VALU_DEP_2)
	v_pk_fma_f32 v[22:23], v[18:19], v[20:21], v[4:5] op_sel_hi:[0,1,1]
	v_pk_fma_f32 v[4:5], v[18:19], v[20:21], v[4:5] neg_lo:[0,0,1] neg_hi:[0,0,1]
	v_mov_b32_e32 v5, v23
	s_delay_alu instid0(VALU_DEP_1)
	v_pk_add_f32 v[4:5], v[24:25], v[4:5]
; %bb.12:                               ;   in Loop: Header=BB9_4 Depth=1
	s_or_b32 exec_lo, exec_lo, s24
	s_wait_loadcnt 0x2
	v_pk_mul_f32 v[18:19], v[6:7], v[6:7]
	s_wait_loadcnt 0x0
	v_pk_add_f32 v[20:21], v[14:15], v[10:11] neg_lo:[0,1] neg_hi:[0,1]
	s_mov_b32 s24, exec_lo
	s_delay_alu instid0(VALU_DEP_2) | instskip(NEXT) | instid1(VALU_DEP_1)
	v_add_f32_e32 v1, v18, v19
                                        ; implicit-def: $vgpr18_vgpr19
	v_cmpx_ngt_f32_e32 0x3e800000, v1
	s_xor_b32 s24, exec_lo, s24
; %bb.13:                               ;   in Loop: Header=BB9_4 Depth=1
	v_dual_sub_f32 v18, 0, v7 :: v_dual_sub_f32 v22, 1.0, v6
	s_delay_alu instid0(VALU_DEP_1) | instskip(NEXT) | instid1(VALU_DEP_1)
	v_pk_mul_f32 v[18:19], v[20:21], v[18:19] op_sel:[1,0] op_sel_hi:[0,0]
	v_pk_fma_f32 v[24:25], v[20:21], v[22:23], v[18:19] op_sel_hi:[1,0,1]
	v_pk_fma_f32 v[18:19], v[20:21], v[22:23], v[18:19] neg_lo:[0,0,1] neg_hi:[0,0,1]
                                        ; implicit-def: $vgpr20_vgpr21
	s_delay_alu instid0(VALU_DEP_2) | instskip(NEXT) | instid1(VALU_DEP_1)
	v_mov_b32_e32 v19, v25
	v_pk_add_f32 v[18:19], v[14:15], v[18:19] neg_lo:[0,1] neg_hi:[0,1]
; %bb.14:                               ;   in Loop: Header=BB9_4 Depth=1
	s_and_not1_saveexec_b32 s24, s24
; %bb.15:                               ;   in Loop: Header=BB9_4 Depth=1
	v_pk_mul_f32 v[14:15], v[20:21], v[6:7] op_sel:[1,1] op_sel_hi:[1,0]
	s_delay_alu instid0(VALU_DEP_1) | instskip(SKIP_1) | instid1(VALU_DEP_2)
	v_pk_fma_f32 v[18:19], v[20:21], v[6:7], v[14:15] op_sel_hi:[0,1,1]
	v_pk_fma_f32 v[6:7], v[20:21], v[6:7], v[14:15] neg_lo:[0,0,1] neg_hi:[0,0,1]
	v_mov_b32_e32 v7, v19
	s_delay_alu instid0(VALU_DEP_1)
	v_pk_add_f32 v[18:19], v[10:11], v[6:7]
; %bb.16:                               ;   in Loop: Header=BB9_4 Depth=1
	s_or_b32 exec_lo, exec_lo, s24
	v_pk_mul_f32 v[6:7], v[8:9], v[8:9]
	s_mov_b32 s24, exec_lo
	s_delay_alu instid0(VALU_DEP_1) | instskip(SKIP_1) | instid1(VALU_DEP_2)
	v_add_f32_e32 v1, v6, v7
	v_pk_add_f32 v[6:7], v[16:17], v[12:13] neg_lo:[0,1] neg_hi:[0,1]
	v_cmpx_ngt_f32_e32 0x3e800000, v1
	s_xor_b32 s24, exec_lo, s24
; %bb.17:                               ;   in Loop: Header=BB9_4 Depth=1
	v_dual_sub_f32 v10, 0, v9 :: v_dual_sub_f32 v8, 1.0, v8
	s_delay_alu instid0(VALU_DEP_1) | instskip(NEXT) | instid1(VALU_DEP_1)
	v_pk_mul_f32 v[10:11], v[6:7], v[10:11] op_sel:[1,0] op_sel_hi:[0,0]
	v_pk_fma_f32 v[12:13], v[6:7], v[8:9], v[10:11] op_sel_hi:[1,0,1]
	v_pk_fma_f32 v[6:7], v[6:7], v[8:9], v[10:11] neg_lo:[0,0,1] neg_hi:[0,0,1]
                                        ; implicit-def: $vgpr8_vgpr9
	s_delay_alu instid0(VALU_DEP_2) | instskip(NEXT) | instid1(VALU_DEP_1)
	v_mov_b32_e32 v7, v13
                                        ; implicit-def: $vgpr12_vgpr13
	v_pk_add_f32 v[20:21], v[16:17], v[6:7] neg_lo:[0,1] neg_hi:[0,1]
                                        ; implicit-def: $vgpr6_vgpr7
; %bb.18:                               ;   in Loop: Header=BB9_4 Depth=1
	s_and_not1_saveexec_b32 s24, s24
	s_cbranch_execz .LBB9_3
; %bb.19:                               ;   in Loop: Header=BB9_4 Depth=1
	v_pk_mul_f32 v[10:11], v[6:7], v[8:9] op_sel:[1,1] op_sel_hi:[1,0]
	s_delay_alu instid0(VALU_DEP_1) | instskip(SKIP_1) | instid1(VALU_DEP_2)
	v_pk_fma_f32 v[14:15], v[6:7], v[8:9], v[10:11] op_sel_hi:[0,1,1]
	v_pk_fma_f32 v[6:7], v[6:7], v[8:9], v[10:11] neg_lo:[0,0,1] neg_hi:[0,0,1]
	v_mov_b32_e32 v7, v15
	s_delay_alu instid0(VALU_DEP_1)
	v_pk_add_f32 v[20:21], v[12:13], v[6:7]
	s_branch .LBB9_3
.LBB9_20:
	s_or_b32 exec_lo, exec_lo, s22
	s_mov_b32 s18, 0
.LBB9_21:
	s_delay_alu instid0(SALU_CYCLE_1)
	s_and_not1_b32 vcc_lo, exec_lo, s18
	s_cbranch_vccnz .LBB9_65
; %bb.22:
	v_cmp_lt_i64_e64 s12, s[10:11], 1
	s_and_b32 vcc_lo, exec_lo, s12
	s_cbranch_vccnz .LBB9_65
; %bb.23:
	s_load_b32 s0, s[0:1], 0xc5c
	v_min_i64 v[2:3], 0x10000, s[10:11]
	v_min_u64 v[4:5], 0x10000, s[10:11]
	v_dual_mov_b32 v1, 0 :: v_dual_lshlrev_b32 v12, 3, v0
	s_wait_xcnt 0x0
	s_mov_b32 s1, 0
	s_delay_alu instid0(SALU_CYCLE_1) | instskip(NEXT) | instid1(VALU_DEP_1)
	s_mov_b32 s15, s1
	v_dual_mov_b32 v13, v1 :: v_dual_mov_b32 v35, v1
	s_mov_b32 s11, s1
	s_mov_b32 s13, s1
	s_delay_alu instid0(VALU_DEP_1) | instskip(SKIP_3) | instid1(SALU_CYCLE_1)
	v_add_nc_u64_e32 v[6:7], s[2:3], v[12:13]
	v_add_nc_u64_e32 v[8:9], s[8:9], v[12:13]
	s_wait_kmcnt 0x0
	s_and_b32 s0, s0, 0xffff
	v_add_nc_u64_e32 v[10:11], s[0:1], v[0:1]
	v_mad_nc_u64_u32 v[28:29], s0, 24, v[12:13]
	s_lshl_b32 s14, s0, 4
	s_mul_i32 s12, s0, 3
	v_add_nc_u64_e32 v[22:23], s[14:15], v[12:13]
	s_lshl_b32 s10, s0, 1
	v_add_nc_u64_e32 v[12:13], s[6:7], v[12:13]
	v_lshlrev_b32_e32 v34, 3, v10
	v_add_nc_u64_e32 v[14:15], s[12:13], v[0:1]
	v_add_nc_u64_e32 v[16:17], s[10:11], v[0:1]
	s_mov_b64 s[10:11], 0
	v_add_nc_u64_e32 v[18:19], s[2:3], v[22:23]
	v_add_nc_u64_e32 v[20:21], s[8:9], v[22:23]
	;; [unrolled: 1-line block ×9, first 2 shown]
	s_lshl_b32 s6, s0, 2
	s_mov_b32 s7, s1
	s_lshl_b32 s8, s0, 5
	s_mov_b32 s9, s1
	s_branch .LBB9_25
.LBB9_24:                               ;   in Loop: Header=BB9_25 Depth=1
	s_wait_xcnt 0x0
	s_or_b32 exec_lo, exec_lo, s0
	s_add_nc_u64 s[10:11], s[10:11], s[6:7]
	v_add_nc_u64_e32 v[6:7], s[8:9], v[6:7]
	v_cmp_ge_i64_e32 vcc_lo, s[10:11], v[2:3]
	v_add_nc_u64_e32 v[8:9], s[8:9], v[8:9]
	v_add_nc_u64_e32 v[12:13], s[8:9], v[12:13]
	;; [unrolled: 1-line block ×11, first 2 shown]
	s_cbranch_vccnz .LBB9_65
.LBB9_25:                               ; =>This Inner Loop Header: Depth=1
	v_add_nc_u64_e32 v[36:37], s[10:11], v[0:1]
	v_dual_mov_b32 v42, 0 :: v_dual_mov_b32 v43, 0
	v_dual_mov_b32 v50, 0 :: v_dual_mov_b32 v51, 0
	s_delay_alu instid0(VALU_DEP_3)
	v_cmp_lt_u64_e32 vcc_lo, v[36:37], v[4:5]
	s_and_saveexec_b32 s0, vcc_lo
	s_cbranch_execz .LBB9_27
; %bb.26:                               ;   in Loop: Header=BB9_25 Depth=1
	v_add_nc_u64_e32 v[36:37], s[4:5], v[8:9]
	v_add_nc_u64_e32 v[38:39], s[4:5], v[6:7]
	global_load_b64 v[42:43], v[36:37], off
	global_load_b64 v[50:51], v[38:39], off
.LBB9_27:                               ;   in Loop: Header=BB9_25 Depth=1
	s_wait_xcnt 0x0
	s_or_b32 exec_lo, exec_lo, s0
	v_dual_mov_b32 v40, 0 :: v_dual_mov_b32 v58, 0
	v_mov_b32_e32 v59, 0
	s_and_saveexec_b32 s0, vcc_lo
	s_cbranch_execz .LBB9_29
; %bb.28:                               ;   in Loop: Header=BB9_25 Depth=1
	v_add_nc_u64_e32 v[36:37], s[4:5], v[12:13]
	global_load_b64 v[58:59], v[36:37], off
.LBB9_29:                               ;   in Loop: Header=BB9_25 Depth=1
	s_wait_xcnt 0x0
	s_or_b32 exec_lo, exec_lo, s0
	v_add_nc_u64_e32 v[36:37], s[10:11], v[10:11]
	v_dual_mov_b32 v41, 0 :: v_dual_mov_b32 v48, 0
	v_mov_b32_e32 v49, 0
	s_delay_alu instid0(VALU_DEP_3)
	v_cmp_lt_u64_e64 s0, v[36:37], v[4:5]
	s_and_saveexec_b32 s1, s0
	s_cbranch_execz .LBB9_31
; %bb.30:                               ;   in Loop: Header=BB9_25 Depth=1
	v_add_nc_u64_e32 v[36:37], s[4:5], v[32:33]
	v_add_nc_u64_e32 v[38:39], s[4:5], v[30:31]
	global_load_b64 v[40:41], v[36:37], off
	global_load_b64 v[48:49], v[38:39], off
.LBB9_31:                               ;   in Loop: Header=BB9_25 Depth=1
	s_wait_xcnt 0x0
	s_or_b32 exec_lo, exec_lo, s1
	v_dual_mov_b32 v38, 0 :: v_dual_mov_b32 v56, 0
	v_mov_b32_e32 v57, 0
	s_and_saveexec_b32 s1, s0
	s_cbranch_execz .LBB9_33
; %bb.32:                               ;   in Loop: Header=BB9_25 Depth=1
	v_add_nc_u64_e32 v[36:37], s[4:5], v[34:35]
	global_load_b64 v[56:57], v[36:37], off
.LBB9_33:                               ;   in Loop: Header=BB9_25 Depth=1
	s_wait_xcnt 0x0
	s_or_b32 exec_lo, exec_lo, s1
	v_add_nc_u64_e32 v[36:37], s[10:11], v[16:17]
	v_dual_mov_b32 v39, 0 :: v_dual_mov_b32 v46, 0
	v_mov_b32_e32 v47, 0
	s_delay_alu instid0(VALU_DEP_3)
	v_cmp_lt_u64_e64 s1, v[36:37], v[4:5]
	s_and_saveexec_b32 s2, s1
	s_cbranch_execz .LBB9_35
; %bb.34:                               ;   in Loop: Header=BB9_25 Depth=1
	v_add_nc_u64_e32 v[36:37], s[4:5], v[20:21]
	v_add_nc_u64_e32 v[44:45], s[4:5], v[18:19]
	global_load_b64 v[38:39], v[36:37], off
	global_load_b64 v[46:47], v[44:45], off
.LBB9_35:                               ;   in Loop: Header=BB9_25 Depth=1
	s_wait_xcnt 0x0
	s_or_b32 exec_lo, exec_lo, s2
	v_dual_mov_b32 v36, 0 :: v_dual_mov_b32 v54, 0
	v_mov_b32_e32 v55, 0
	s_and_saveexec_b32 s2, s1
	s_cbranch_execz .LBB9_37
; %bb.36:                               ;   in Loop: Header=BB9_25 Depth=1
	v_add_nc_u64_e32 v[44:45], s[4:5], v[22:23]
	global_load_b64 v[54:55], v[44:45], off
.LBB9_37:                               ;   in Loop: Header=BB9_25 Depth=1
	s_wait_xcnt 0x0
	s_or_b32 exec_lo, exec_lo, s2
	v_add_nc_u64_e32 v[44:45], s[10:11], v[14:15]
	v_mov_b32_e32 v37, 0
	s_delay_alu instid0(VALU_DEP_2)
	v_cmp_lt_u64_e64 s2, v[44:45], v[4:5]
	v_dual_mov_b32 v44, 0 :: v_dual_mov_b32 v45, 0
	s_and_saveexec_b32 s3, s2
	s_cbranch_execz .LBB9_39
; %bb.38:                               ;   in Loop: Header=BB9_25 Depth=1
	v_add_nc_u64_e32 v[52:53], s[4:5], v[26:27]
	v_add_nc_u64_e32 v[60:61], s[4:5], v[24:25]
	global_load_b64 v[36:37], v[52:53], off
	global_load_b64 v[44:45], v[60:61], off
.LBB9_39:                               ;   in Loop: Header=BB9_25 Depth=1
	s_wait_xcnt 0x0
	s_or_b32 exec_lo, exec_lo, s3
	v_mov_b32_e32 v52, 0
	s_delay_alu instid0(VALU_DEP_1)
	v_mov_b32_e32 v53, v52
	s_and_saveexec_b32 s3, s2
	s_cbranch_execz .LBB9_41
; %bb.40:                               ;   in Loop: Header=BB9_25 Depth=1
	v_add_nc_u64_e32 v[52:53], s[4:5], v[28:29]
	global_load_b64 v[52:53], v[52:53], off
.LBB9_41:                               ;   in Loop: Header=BB9_25 Depth=1
	s_wait_xcnt 0x0
	s_or_b32 exec_lo, exec_lo, s3
	s_wait_loadcnt 0x0
	v_pk_mul_f32 v[60:61], v[58:59], v[58:59]
	v_pk_add_f32 v[62:63], v[50:51], v[42:43] neg_lo:[0,1] neg_hi:[0,1]
	s_delay_alu instid0(VALU_DEP_2) | instskip(NEXT) | instid1(VALU_DEP_1)
	v_add_f32_e32 v60, v61, v60
	v_cmp_ngt_f32_e64 s3, 0x3e800000, v60
                                        ; implicit-def: $vgpr60_vgpr61
	s_and_saveexec_b32 s12, s3
	s_delay_alu instid0(SALU_CYCLE_1)
	s_xor_b32 s3, exec_lo, s12
; %bb.42:                               ;   in Loop: Header=BB9_25 Depth=1
	v_pk_add_f32 v[42:43], v[58:59], 1.0 neg_lo:[1,0] neg_hi:[1,0]
	s_delay_alu instid0(VALU_DEP_1) | instskip(NEXT) | instid1(VALU_DEP_1)
	v_pk_mul_f32 v[58:59], v[62:63], v[42:43] op_sel:[1,1] op_sel_hi:[1,0]
	v_pk_fma_f32 v[60:61], v[62:63], v[42:43], v[58:59] op_sel_hi:[0,1,1]
	v_pk_fma_f32 v[42:43], v[62:63], v[42:43], v[58:59] neg_lo:[0,0,1] neg_hi:[0,0,1]
                                        ; implicit-def: $vgpr62_vgpr63
                                        ; implicit-def: $vgpr58_vgpr59
	s_delay_alu instid0(VALU_DEP_2) | instskip(NEXT) | instid1(VALU_DEP_1)
	v_mov_b32_e32 v43, v61
	v_pk_add_f32 v[60:61], v[50:51], v[42:43] neg_lo:[0,1] neg_hi:[0,1]
                                        ; implicit-def: $vgpr42_vgpr43
; %bb.43:                               ;   in Loop: Header=BB9_25 Depth=1
	s_and_not1_saveexec_b32 s3, s3
; %bb.44:                               ;   in Loop: Header=BB9_25 Depth=1
	v_pk_mul_f32 v[50:51], v[62:63], v[58:59] op_sel:[1,1] op_sel_hi:[1,0]
	s_delay_alu instid0(VALU_DEP_1) | instskip(SKIP_1) | instid1(VALU_DEP_2)
	v_pk_fma_f32 v[60:61], v[62:63], v[58:59], v[50:51] op_sel_hi:[0,1,1]
	v_pk_fma_f32 v[50:51], v[62:63], v[58:59], v[50:51] neg_lo:[0,0,1] neg_hi:[0,0,1]
	v_mov_b32_e32 v51, v61
	s_delay_alu instid0(VALU_DEP_1)
	v_pk_add_f32 v[60:61], v[42:43], v[50:51]
; %bb.45:                               ;   in Loop: Header=BB9_25 Depth=1
	s_or_b32 exec_lo, exec_lo, s3
	v_pk_mul_f32 v[42:43], v[56:57], v[56:57]
	v_pk_add_f32 v[50:51], v[48:49], v[40:41] neg_lo:[0,1] neg_hi:[0,1]
	s_delay_alu instid0(VALU_DEP_2) | instskip(NEXT) | instid1(VALU_DEP_1)
	v_add_f32_e32 v42, v43, v42
	v_cmp_ngt_f32_e64 s3, 0x3e800000, v42
                                        ; implicit-def: $vgpr42_vgpr43
	s_and_saveexec_b32 s12, s3
	s_delay_alu instid0(SALU_CYCLE_1)
	s_xor_b32 s3, exec_lo, s12
; %bb.46:                               ;   in Loop: Header=BB9_25 Depth=1
	v_pk_add_f32 v[40:41], v[56:57], 1.0 neg_lo:[1,0] neg_hi:[1,0]
	s_delay_alu instid0(VALU_DEP_1) | instskip(NEXT) | instid1(VALU_DEP_1)
	v_pk_mul_f32 v[42:43], v[50:51], v[40:41] op_sel:[1,1] op_sel_hi:[1,0]
	v_pk_fma_f32 v[56:57], v[50:51], v[40:41], v[42:43] op_sel_hi:[0,1,1]
	v_pk_fma_f32 v[40:41], v[50:51], v[40:41], v[42:43] neg_lo:[0,0,1] neg_hi:[0,0,1]
                                        ; implicit-def: $vgpr50_vgpr51
	s_delay_alu instid0(VALU_DEP_2) | instskip(NEXT) | instid1(VALU_DEP_1)
	v_mov_b32_e32 v41, v57
                                        ; implicit-def: $vgpr56_vgpr57
	v_pk_add_f32 v[42:43], v[48:49], v[40:41] neg_lo:[0,1] neg_hi:[0,1]
                                        ; implicit-def: $vgpr40_vgpr41
; %bb.47:                               ;   in Loop: Header=BB9_25 Depth=1
	s_and_not1_saveexec_b32 s3, s3
; %bb.48:                               ;   in Loop: Header=BB9_25 Depth=1
	v_pk_mul_f32 v[42:43], v[50:51], v[56:57] op_sel:[1,1] op_sel_hi:[1,0]
	s_delay_alu instid0(VALU_DEP_1) | instskip(SKIP_1) | instid1(VALU_DEP_2)
	v_pk_fma_f32 v[48:49], v[50:51], v[56:57], v[42:43] op_sel_hi:[0,1,1]
	v_pk_fma_f32 v[42:43], v[50:51], v[56:57], v[42:43] neg_lo:[0,0,1] neg_hi:[0,0,1]
	v_mov_b32_e32 v43, v49
	s_delay_alu instid0(VALU_DEP_1)
	v_pk_add_f32 v[42:43], v[40:41], v[42:43]
; %bb.49:                               ;   in Loop: Header=BB9_25 Depth=1
	s_or_b32 exec_lo, exec_lo, s3
	v_pk_mul_f32 v[40:41], v[54:55], v[54:55]
	v_pk_add_f32 v[48:49], v[46:47], v[38:39] neg_lo:[0,1] neg_hi:[0,1]
	s_delay_alu instid0(VALU_DEP_2) | instskip(NEXT) | instid1(VALU_DEP_1)
	v_add_f32_e32 v40, v41, v40
	v_cmp_ngt_f32_e64 s3, 0x3e800000, v40
                                        ; implicit-def: $vgpr40_vgpr41
	s_and_saveexec_b32 s12, s3
	s_delay_alu instid0(SALU_CYCLE_1)
	s_xor_b32 s3, exec_lo, s12
; %bb.50:                               ;   in Loop: Header=BB9_25 Depth=1
	v_pk_add_f32 v[38:39], v[54:55], 1.0 neg_lo:[1,0] neg_hi:[1,0]
                                        ; implicit-def: $vgpr54_vgpr55
	s_delay_alu instid0(VALU_DEP_1) | instskip(NEXT) | instid1(VALU_DEP_1)
	v_pk_mul_f32 v[40:41], v[48:49], v[38:39] op_sel:[1,1] op_sel_hi:[1,0]
	v_pk_fma_f32 v[50:51], v[48:49], v[38:39], v[40:41] op_sel_hi:[0,1,1]
	v_pk_fma_f32 v[38:39], v[48:49], v[38:39], v[40:41] neg_lo:[0,0,1] neg_hi:[0,0,1]
                                        ; implicit-def: $vgpr48_vgpr49
	s_delay_alu instid0(VALU_DEP_2) | instskip(NEXT) | instid1(VALU_DEP_1)
	v_mov_b32_e32 v39, v51
	v_pk_add_f32 v[40:41], v[46:47], v[38:39] neg_lo:[0,1] neg_hi:[0,1]
                                        ; implicit-def: $vgpr38_vgpr39
; %bb.51:                               ;   in Loop: Header=BB9_25 Depth=1
	s_and_not1_saveexec_b32 s3, s3
; %bb.52:                               ;   in Loop: Header=BB9_25 Depth=1
	v_pk_mul_f32 v[40:41], v[48:49], v[54:55] op_sel:[1,1] op_sel_hi:[1,0]
	s_delay_alu instid0(VALU_DEP_1) | instskip(SKIP_1) | instid1(VALU_DEP_2)
	v_pk_fma_f32 v[46:47], v[48:49], v[54:55], v[40:41] op_sel_hi:[0,1,1]
	v_pk_fma_f32 v[40:41], v[48:49], v[54:55], v[40:41] neg_lo:[0,0,1] neg_hi:[0,0,1]
	v_mov_b32_e32 v41, v47
	s_delay_alu instid0(VALU_DEP_1)
	v_pk_add_f32 v[40:41], v[38:39], v[40:41]
; %bb.53:                               ;   in Loop: Header=BB9_25 Depth=1
	s_or_b32 exec_lo, exec_lo, s3
	v_pk_mul_f32 v[38:39], v[52:53], v[52:53]
	v_pk_add_f32 v[46:47], v[44:45], v[36:37] neg_lo:[0,1] neg_hi:[0,1]
	s_delay_alu instid0(VALU_DEP_2) | instskip(NEXT) | instid1(VALU_DEP_1)
	v_add_f32_e32 v38, v39, v38
	v_cmp_ngt_f32_e64 s3, 0x3e800000, v38
                                        ; implicit-def: $vgpr38_vgpr39
	s_and_saveexec_b32 s12, s3
	s_delay_alu instid0(SALU_CYCLE_1)
	s_xor_b32 s3, exec_lo, s12
	s_cbranch_execnz .LBB9_59
; %bb.54:                               ;   in Loop: Header=BB9_25 Depth=1
	s_and_not1_saveexec_b32 s3, s3
	s_cbranch_execnz .LBB9_60
.LBB9_55:                               ;   in Loop: Header=BB9_25 Depth=1
	s_or_b32 exec_lo, exec_lo, s3
	s_and_saveexec_b32 s3, vcc_lo
	s_delay_alu instid0(SALU_CYCLE_1)
	s_xor_b32 s3, exec_lo, s3
	s_cbranch_execnz .LBB9_61
.LBB9_56:                               ;   in Loop: Header=BB9_25 Depth=1
	s_or_b32 exec_lo, exec_lo, s3
	s_and_saveexec_b32 s3, s0
	s_cbranch_execnz .LBB9_62
.LBB9_57:                               ;   in Loop: Header=BB9_25 Depth=1
	s_or_b32 exec_lo, exec_lo, s3
	s_and_saveexec_b32 s0, s1
	s_cbranch_execnz .LBB9_63
.LBB9_58:                               ;   in Loop: Header=BB9_25 Depth=1
	s_or_b32 exec_lo, exec_lo, s0
	s_and_saveexec_b32 s0, s2
	s_cbranch_execz .LBB9_24
	s_branch .LBB9_64
.LBB9_59:                               ;   in Loop: Header=BB9_25 Depth=1
	v_pk_add_f32 v[36:37], v[52:53], 1.0 neg_lo:[1,0] neg_hi:[1,0]
                                        ; implicit-def: $vgpr52_vgpr53
	s_delay_alu instid0(VALU_DEP_1) | instskip(NEXT) | instid1(VALU_DEP_1)
	v_pk_mul_f32 v[38:39], v[46:47], v[36:37] op_sel:[1,1] op_sel_hi:[1,0]
	v_pk_fma_f32 v[48:49], v[46:47], v[36:37], v[38:39] op_sel_hi:[0,1,1]
	v_pk_fma_f32 v[36:37], v[46:47], v[36:37], v[38:39] neg_lo:[0,0,1] neg_hi:[0,0,1]
                                        ; implicit-def: $vgpr46_vgpr47
	s_delay_alu instid0(VALU_DEP_2) | instskip(NEXT) | instid1(VALU_DEP_1)
	v_mov_b32_e32 v37, v49
	v_pk_add_f32 v[38:39], v[44:45], v[36:37] neg_lo:[0,1] neg_hi:[0,1]
                                        ; implicit-def: $vgpr36_vgpr37
	s_and_not1_saveexec_b32 s3, s3
	s_cbranch_execz .LBB9_55
.LBB9_60:                               ;   in Loop: Header=BB9_25 Depth=1
	v_pk_mul_f32 v[38:39], v[46:47], v[52:53] op_sel:[1,1] op_sel_hi:[1,0]
	s_delay_alu instid0(VALU_DEP_1) | instskip(SKIP_1) | instid1(VALU_DEP_2)
	v_pk_fma_f32 v[44:45], v[46:47], v[52:53], v[38:39] op_sel_hi:[0,1,1]
	v_pk_fma_f32 v[38:39], v[46:47], v[52:53], v[38:39] neg_lo:[0,0,1] neg_hi:[0,0,1]
	v_mov_b32_e32 v39, v45
	s_delay_alu instid0(VALU_DEP_1) | instskip(SKIP_2) | instid1(SALU_CYCLE_1)
	v_pk_add_f32 v[38:39], v[36:37], v[38:39]
	s_or_b32 exec_lo, exec_lo, s3
	s_and_saveexec_b32 s3, vcc_lo
	s_xor_b32 s3, exec_lo, s3
	s_cbranch_execz .LBB9_56
.LBB9_61:                               ;   in Loop: Header=BB9_25 Depth=1
	v_add_nc_u64_e32 v[36:37], s[4:5], v[8:9]
	global_store_b64 v[36:37], v[60:61], off
	s_wait_xcnt 0x0
	s_or_b32 exec_lo, exec_lo, s3
	s_and_saveexec_b32 s3, s0
	s_cbranch_execz .LBB9_57
.LBB9_62:                               ;   in Loop: Header=BB9_25 Depth=1
	v_add_nc_u64_e32 v[36:37], s[4:5], v[32:33]
	global_store_b64 v[36:37], v[42:43], off
	s_wait_xcnt 0x0
	s_or_b32 exec_lo, exec_lo, s3
	s_and_saveexec_b32 s0, s1
	s_cbranch_execz .LBB9_58
.LBB9_63:                               ;   in Loop: Header=BB9_25 Depth=1
	v_add_nc_u64_e32 v[36:37], s[4:5], v[20:21]
	global_store_b64 v[36:37], v[40:41], off
	s_wait_xcnt 0x0
	s_or_b32 exec_lo, exec_lo, s0
	s_and_saveexec_b32 s0, s2
	s_cbranch_execz .LBB9_24
.LBB9_64:                               ;   in Loop: Header=BB9_25 Depth=1
	v_add_nc_u64_e32 v[36:37], s[4:5], v[26:27]
	global_store_b64 v[36:37], v[38:39], off
	s_branch .LBB9_24
.LBB9_65:
	s_endpgm
	.section	.rodata,"a",@progbits
	.p2align	6, 0x0
	.amdhsa_kernel _ZN2at6native12_GLOBAL__N_125multi_tensor_apply_kernelINS1_18TensorListMetadataILi3EEENS1_20TernaryOpListFunctorIN3c107complexIfEELi3ELi3ELi0EEEJNS0_11LerpFunctorIS8_EEEEEvT_T0_DpT1_
		.amdhsa_group_segment_fixed_size 0
		.amdhsa_private_segment_fixed_size 0
		.amdhsa_kernarg_size 3408
		.amdhsa_user_sgpr_count 2
		.amdhsa_user_sgpr_dispatch_ptr 0
		.amdhsa_user_sgpr_queue_ptr 0
		.amdhsa_user_sgpr_kernarg_segment_ptr 1
		.amdhsa_user_sgpr_dispatch_id 0
		.amdhsa_user_sgpr_kernarg_preload_length 0
		.amdhsa_user_sgpr_kernarg_preload_offset 0
		.amdhsa_user_sgpr_private_segment_size 0
		.amdhsa_wavefront_size32 1
		.amdhsa_uses_dynamic_stack 0
		.amdhsa_enable_private_segment 0
		.amdhsa_system_sgpr_workgroup_id_x 1
		.amdhsa_system_sgpr_workgroup_id_y 0
		.amdhsa_system_sgpr_workgroup_id_z 0
		.amdhsa_system_sgpr_workgroup_info 0
		.amdhsa_system_vgpr_workitem_id 0
		.amdhsa_next_free_vgpr 64
		.amdhsa_next_free_sgpr 25
		.amdhsa_named_barrier_count 0
		.amdhsa_reserve_vcc 1
		.amdhsa_float_round_mode_32 0
		.amdhsa_float_round_mode_16_64 0
		.amdhsa_float_denorm_mode_32 3
		.amdhsa_float_denorm_mode_16_64 3
		.amdhsa_fp16_overflow 0
		.amdhsa_memory_ordered 1
		.amdhsa_forward_progress 1
		.amdhsa_inst_pref_size 22
		.amdhsa_round_robin_scheduling 0
		.amdhsa_exception_fp_ieee_invalid_op 0
		.amdhsa_exception_fp_denorm_src 0
		.amdhsa_exception_fp_ieee_div_zero 0
		.amdhsa_exception_fp_ieee_overflow 0
		.amdhsa_exception_fp_ieee_underflow 0
		.amdhsa_exception_fp_ieee_inexact 0
		.amdhsa_exception_int_div_zero 0
	.end_amdhsa_kernel
	.section	.text._ZN2at6native12_GLOBAL__N_125multi_tensor_apply_kernelINS1_18TensorListMetadataILi3EEENS1_20TernaryOpListFunctorIN3c107complexIfEELi3ELi3ELi0EEEJNS0_11LerpFunctorIS8_EEEEEvT_T0_DpT1_,"axG",@progbits,_ZN2at6native12_GLOBAL__N_125multi_tensor_apply_kernelINS1_18TensorListMetadataILi3EEENS1_20TernaryOpListFunctorIN3c107complexIfEELi3ELi3ELi0EEEJNS0_11LerpFunctorIS8_EEEEEvT_T0_DpT1_,comdat
.Lfunc_end9:
	.size	_ZN2at6native12_GLOBAL__N_125multi_tensor_apply_kernelINS1_18TensorListMetadataILi3EEENS1_20TernaryOpListFunctorIN3c107complexIfEELi3ELi3ELi0EEEJNS0_11LerpFunctorIS8_EEEEEvT_T0_DpT1_, .Lfunc_end9-_ZN2at6native12_GLOBAL__N_125multi_tensor_apply_kernelINS1_18TensorListMetadataILi3EEENS1_20TernaryOpListFunctorIN3c107complexIfEELi3ELi3ELi0EEEJNS0_11LerpFunctorIS8_EEEEEvT_T0_DpT1_
                                        ; -- End function
	.set _ZN2at6native12_GLOBAL__N_125multi_tensor_apply_kernelINS1_18TensorListMetadataILi3EEENS1_20TernaryOpListFunctorIN3c107complexIfEELi3ELi3ELi0EEEJNS0_11LerpFunctorIS8_EEEEEvT_T0_DpT1_.num_vgpr, 64
	.set _ZN2at6native12_GLOBAL__N_125multi_tensor_apply_kernelINS1_18TensorListMetadataILi3EEENS1_20TernaryOpListFunctorIN3c107complexIfEELi3ELi3ELi0EEEJNS0_11LerpFunctorIS8_EEEEEvT_T0_DpT1_.num_agpr, 0
	.set _ZN2at6native12_GLOBAL__N_125multi_tensor_apply_kernelINS1_18TensorListMetadataILi3EEENS1_20TernaryOpListFunctorIN3c107complexIfEELi3ELi3ELi0EEEJNS0_11LerpFunctorIS8_EEEEEvT_T0_DpT1_.numbered_sgpr, 25
	.set _ZN2at6native12_GLOBAL__N_125multi_tensor_apply_kernelINS1_18TensorListMetadataILi3EEENS1_20TernaryOpListFunctorIN3c107complexIfEELi3ELi3ELi0EEEJNS0_11LerpFunctorIS8_EEEEEvT_T0_DpT1_.num_named_barrier, 0
	.set _ZN2at6native12_GLOBAL__N_125multi_tensor_apply_kernelINS1_18TensorListMetadataILi3EEENS1_20TernaryOpListFunctorIN3c107complexIfEELi3ELi3ELi0EEEJNS0_11LerpFunctorIS8_EEEEEvT_T0_DpT1_.private_seg_size, 0
	.set _ZN2at6native12_GLOBAL__N_125multi_tensor_apply_kernelINS1_18TensorListMetadataILi3EEENS1_20TernaryOpListFunctorIN3c107complexIfEELi3ELi3ELi0EEEJNS0_11LerpFunctorIS8_EEEEEvT_T0_DpT1_.uses_vcc, 1
	.set _ZN2at6native12_GLOBAL__N_125multi_tensor_apply_kernelINS1_18TensorListMetadataILi3EEENS1_20TernaryOpListFunctorIN3c107complexIfEELi3ELi3ELi0EEEJNS0_11LerpFunctorIS8_EEEEEvT_T0_DpT1_.uses_flat_scratch, 0
	.set _ZN2at6native12_GLOBAL__N_125multi_tensor_apply_kernelINS1_18TensorListMetadataILi3EEENS1_20TernaryOpListFunctorIN3c107complexIfEELi3ELi3ELi0EEEJNS0_11LerpFunctorIS8_EEEEEvT_T0_DpT1_.has_dyn_sized_stack, 0
	.set _ZN2at6native12_GLOBAL__N_125multi_tensor_apply_kernelINS1_18TensorListMetadataILi3EEENS1_20TernaryOpListFunctorIN3c107complexIfEELi3ELi3ELi0EEEJNS0_11LerpFunctorIS8_EEEEEvT_T0_DpT1_.has_recursion, 0
	.set _ZN2at6native12_GLOBAL__N_125multi_tensor_apply_kernelINS1_18TensorListMetadataILi3EEENS1_20TernaryOpListFunctorIN3c107complexIfEELi3ELi3ELi0EEEJNS0_11LerpFunctorIS8_EEEEEvT_T0_DpT1_.has_indirect_call, 0
	.section	.AMDGPU.csdata,"",@progbits
; Kernel info:
; codeLenInByte = 2700
; TotalNumSgprs: 27
; NumVgprs: 64
; ScratchSize: 0
; MemoryBound: 1
; FloatMode: 240
; IeeeMode: 1
; LDSByteSize: 0 bytes/workgroup (compile time only)
; SGPRBlocks: 0
; VGPRBlocks: 3
; NumSGPRsForWavesPerEU: 27
; NumVGPRsForWavesPerEU: 64
; NamedBarCnt: 0
; Occupancy: 16
; WaveLimiterHint : 0
; COMPUTE_PGM_RSRC2:SCRATCH_EN: 0
; COMPUTE_PGM_RSRC2:USER_SGPR: 2
; COMPUTE_PGM_RSRC2:TRAP_HANDLER: 0
; COMPUTE_PGM_RSRC2:TGID_X_EN: 1
; COMPUTE_PGM_RSRC2:TGID_Y_EN: 0
; COMPUTE_PGM_RSRC2:TGID_Z_EN: 0
; COMPUTE_PGM_RSRC2:TIDIG_COMP_CNT: 0
	.section	.text._ZN2at6native12_GLOBAL__N_125multi_tensor_apply_kernelINS1_18TensorListMetadataILi3EEENS1_20TernaryOpListFunctorIN3c104HalfELi3ELi3ELi0EEEJNS0_11LerpFunctorIfEEEEEvT_T0_DpT1_,"axG",@progbits,_ZN2at6native12_GLOBAL__N_125multi_tensor_apply_kernelINS1_18TensorListMetadataILi3EEENS1_20TernaryOpListFunctorIN3c104HalfELi3ELi3ELi0EEEJNS0_11LerpFunctorIfEEEEEvT_T0_DpT1_,comdat
	.globl	_ZN2at6native12_GLOBAL__N_125multi_tensor_apply_kernelINS1_18TensorListMetadataILi3EEENS1_20TernaryOpListFunctorIN3c104HalfELi3ELi3ELi0EEEJNS0_11LerpFunctorIfEEEEEvT_T0_DpT1_ ; -- Begin function _ZN2at6native12_GLOBAL__N_125multi_tensor_apply_kernelINS1_18TensorListMetadataILi3EEENS1_20TernaryOpListFunctorIN3c104HalfELi3ELi3ELi0EEEJNS0_11LerpFunctorIfEEEEEvT_T0_DpT1_
	.p2align	8
	.type	_ZN2at6native12_GLOBAL__N_125multi_tensor_apply_kernelINS1_18TensorListMetadataILi3EEENS1_20TernaryOpListFunctorIN3c104HalfELi3ELi3ELi0EEEJNS0_11LerpFunctorIfEEEEEvT_T0_DpT1_,@function
_ZN2at6native12_GLOBAL__N_125multi_tensor_apply_kernelINS1_18TensorListMetadataILi3EEENS1_20TernaryOpListFunctorIN3c104HalfELi3ELi3ELi0EEEJNS0_11LerpFunctorIfEEEEEvT_T0_DpT1_: ; @_ZN2at6native12_GLOBAL__N_125multi_tensor_apply_kernelINS1_18TensorListMetadataILi3EEENS1_20TernaryOpListFunctorIN3c104HalfELi3ELi3ELi0EEEJNS0_11LerpFunctorIfEEEEEvT_T0_DpT1_
; %bb.0:
	s_bfe_u32 s2, ttmp6, 0x4000c
	s_and_b32 s3, ttmp6, 15
	s_add_co_i32 s2, s2, 1
	s_getreg_b32 s4, hwreg(HW_REG_IB_STS2, 6, 4)
	s_mul_i32 s2, ttmp9, s2
	s_delay_alu instid0(SALU_CYCLE_1)
	s_add_co_i32 s3, s3, s2
	s_cmp_eq_u32 s4, 0
	s_cselect_b32 s2, ttmp9, s3
	s_mov_b32 s3, 0
	s_load_u8 s15, s[0:1], s2 offset:0x600
	s_add_nc_u64 s[4:5], s[0:1], s[2:3]
	s_mul_u64 s[6:7], s[2:3], 3
	s_delay_alu instid0(SALU_CYCLE_1)
	s_add_nc_u64 s[4:5], s[4:5], s[6:7]
	s_load_b32 s14, s[4:5], 0x740
	s_wait_kmcnt 0x0
	s_clause 0x3
	s_load_b64 s[8:9], s[0:1], s15 offset:0x180 scale_offset
	s_load_b64 s[10:11], s[0:1], s15 offset:0x300 scale_offset
	;; [unrolled: 1-line block ×4, first 2 shown]
	s_wait_xcnt 0x0
	s_ashr_i32 s15, s14, 31
	s_delay_alu instid0(SALU_CYCLE_1) | instskip(SKIP_2) | instid1(SALU_CYCLE_1)
	s_lshl_b64 s[6:7], s[14:15], 17
	s_wait_kmcnt 0x0
	s_add_nc_u64 s[4:5], s[8:9], s[6:7]
	s_or_b32 s2, s10, s4
	s_and_b64 s[4:5], s[12:13], 7
	s_and_b32 s2, s2, 7
	s_delay_alu instid0(SALU_CYCLE_1) | instskip(SKIP_2) | instid1(SALU_CYCLE_1)
	s_cmp_lg_u32 s2, 0
	s_cselect_b32 s18, -1, 0
	s_and_b32 s2, s16, 3
	s_or_b64 s[2:3], s[4:5], s[2:3]
	s_lshl_b64 s[4:5], s[14:15], 16
	s_cmp_lg_u64 s[2:3], 0
	s_sub_nc_u64 s[14:15], s[16:17], s[4:5]
	s_cselect_b32 s2, -1, 0
	s_delay_alu instid0(SALU_CYCLE_1) | instskip(NEXT) | instid1(SALU_CYCLE_1)
	s_or_b32 s2, s18, s2
	s_and_not1_b32 vcc_lo, exec_lo, s2
	s_mov_b32 s2, -1
	s_cbranch_vccz .LBB10_5
; %bb.1:
	v_min_i64 v[2:3], 0x10000, s[14:15]
	v_dual_mov_b32 v5, 0 :: v_dual_lshlrev_b32 v4, 2, v0
	s_mov_b32 s5, exec_lo
	s_delay_alu instid0(VALU_DEP_1)
	v_cmpx_lt_i64_e64 v[4:5], v[2:3]
	s_cbranch_execz .LBB10_4
; %bb.2:
	s_load_b32 s2, s[0:1], 0xc5c
	v_dual_mov_b32 v1, v5 :: v_dual_lshlrev_b32 v4, 3, v0
	s_mov_b32 s17, 0
	s_delay_alu instid0(SALU_CYCLE_1) | instskip(NEXT) | instid1(VALU_DEP_1)
	s_mov_b32 s19, s17
	v_add_nc_u64_e32 v[4:5], s[6:7], v[4:5]
	s_delay_alu instid0(VALU_DEP_2) | instskip(SKIP_3) | instid1(SALU_CYCLE_1)
	v_mov_b64_e32 v[6:7], v[0:1]
	s_mov_b32 s20, s17
	s_wait_kmcnt 0x0
	s_and_b32 s16, s2, 0xffff
	s_lshl_b32 s18, s16, 3
.LBB10_3:                               ; =>This Inner Loop Header: Depth=1
	s_delay_alu instid0(VALU_DEP_2)
	v_add_nc_u64_e32 v[8:9], s[12:13], v[4:5]
	v_add_nc_u64_e32 v[10:11], s[8:9], v[4:5]
	;; [unrolled: 1-line block ×5, first 2 shown]
	global_load_b64 v[14:15], v[8:9], off
	global_load_b64 v[16:17], v[10:11], off
	global_load_b64 v[18:19], v[12:13], off
	s_wait_xcnt 0x1
	v_lshlrev_b64_e32 v[10:11], 2, v[6:7]
	s_wait_loadcnt 0x1
	v_dual_lshrrev_b32 v1, 16, v15 :: v_dual_lshrrev_b32 v21, 16, v17
	s_wait_xcnt 0x0
	v_cvt_f32_f16_e32 v12, v15
	v_lshrrev_b32_e32 v15, 16, v14
	v_cvt_f32_f16_e32 v20, v17
	s_wait_loadcnt 0x0
	v_dual_lshrrev_b32 v17, 16, v16 :: v_dual_lshrrev_b32 v23, 16, v18
	v_lshrrev_b32_e32 v24, 16, v19
	v_cvt_f32_f16_e32 v22, v19
	v_cvt_f32_f16_e32 v13, v1
	;; [unrolled: 1-line block ×10, first 2 shown]
	v_dual_sub_f32 v26, v20, v12 :: v_dual_sub_f32 v28, 1.0, v18
	v_dual_sub_f32 v30, 1.0, v22 :: v_dual_sub_f32 v27, v21, v13
	v_dual_sub_f32 v24, v16, v14 :: v_dual_sub_f32 v25, v17, v15
	s_delay_alu instid0(VALU_DEP_3) | instskip(SKIP_1) | instid1(VALU_DEP_4)
	v_xor_b32_e32 v32, 0x80000000, v26
	v_cmp_lt_f32_e64 vcc_lo, |v22|, 0.5
	v_xor_b32_e32 v33, 0x80000000, v27
	v_pk_fma_f32 v[12:13], v[26:27], v[22:23], v[12:13]
	v_sub_f32_e32 v31, 1.0, v23
	v_xor_b32_e32 v34, 0x80000000, v24
	v_xor_b32_e32 v35, 0x80000000, v25
	v_cmp_lt_f32_e64 s2, |v23|, 0.5
	v_pk_fma_f32 v[14:15], v[24:25], v[18:19], v[14:15]
	v_pk_fma_f32 v[20:21], v[32:33], v[30:31], v[20:21]
	v_sub_f32_e32 v29, 1.0, v19
	v_cmp_lt_f32_e64 s3, |v18|, 0.5
	v_cmp_lt_f32_e64 s4, |v19|, 0.5
	s_delay_alu instid0(VALU_DEP_4) | instskip(NEXT) | instid1(VALU_DEP_4)
	v_cndmask_b32_e64 v13, v21, v13, s2
	v_pk_fma_f32 v[16:17], v[34:35], v[28:29], v[16:17]
	v_cndmask_b32_e32 v12, v20, v12, vcc_lo
	v_cmp_ge_i64_e32 vcc_lo, v[10:11], v[2:3]
	s_delay_alu instid0(VALU_DEP_3) | instskip(NEXT) | instid1(VALU_DEP_3)
	v_dual_cndmask_b32 v1, v17, v15, s4 :: v_dual_cndmask_b32 v14, v16, v14, s3
	v_cvt_pk_f16_f32 v11, v12, v13
	s_or_b32 s20, vcc_lo, s20
	s_delay_alu instid0(VALU_DEP_2)
	v_cvt_pk_f16_f32 v10, v14, v1
	global_store_b64 v[8:9], v[10:11], off
	s_wait_xcnt 0x0
	s_and_not1_b32 exec_lo, exec_lo, s20
	s_cbranch_execnz .LBB10_3
.LBB10_4:
	s_or_b32 exec_lo, exec_lo, s5
	s_mov_b32 s2, 0
.LBB10_5:
	s_delay_alu instid0(SALU_CYCLE_1)
	s_and_not1_b32 vcc_lo, exec_lo, s2
	s_cbranch_vccnz .LBB10_33
; %bb.6:
	v_cmp_lt_i64_e64 s2, s[14:15], 1
	s_and_b32 vcc_lo, exec_lo, s2
	s_cbranch_vccnz .LBB10_33
; %bb.7:
	s_load_b32 s0, s[0:1], 0xc5c
	v_min_i64 v[2:3], 0x10000, s[14:15]
	v_min_u64 v[4:5], 0x10000, s[14:15]
	v_dual_mov_b32 v1, 0 :: v_dual_lshlrev_b32 v12, 1, v0
	s_wait_xcnt 0x0
	s_mov_b32 s1, 0
	v_mov_b32_e32 v37, 1.0
	s_mov_b32 s5, s1
	v_dual_mov_b32 v13, v1 :: v_dual_mov_b32 v35, v1
	s_mov_b32 s3, s1
	s_mov_b32 s15, s1
	s_delay_alu instid0(VALU_DEP_1) | instskip(SKIP_3) | instid1(SALU_CYCLE_1)
	v_add_nc_u64_e32 v[6:7], s[12:13], v[12:13]
	v_add_nc_u64_e32 v[8:9], s[8:9], v[12:13]
	s_wait_kmcnt 0x0
	s_and_b32 s0, s0, 0xffff
	v_add_nc_u64_e32 v[10:11], s[0:1], v[0:1]
	v_mad_nc_u64_u32 v[28:29], s0, 6, v[12:13]
	s_lshl_b32 s4, s0, 2
	s_mul_i32 s14, s0, 3
	v_add_nc_u64_e32 v[22:23], s[4:5], v[12:13]
	s_lshl_b32 s2, s0, 1
	v_add_nc_u64_e32 v[12:13], s[10:11], v[12:13]
	v_lshlrev_b32_e32 v34, 1, v10
	v_add_nc_u64_e32 v[14:15], s[14:15], v[0:1]
	v_add_nc_u64_e32 v[16:17], s[2:3], v[0:1]
	;; [unrolled: 1-line block ×11, first 2 shown]
	s_lshl_b32 s8, s0, 3
	s_mov_b32 s9, s1
	s_mov_b64 s[10:11], 0
	s_branch .LBB10_9
.LBB10_8:                               ;   in Loop: Header=BB10_9 Depth=1
	s_wait_xcnt 0x0
	s_or_b32 exec_lo, exec_lo, s0
	s_add_nc_u64 s[10:11], s[10:11], s[4:5]
	v_add_nc_u64_e32 v[6:7], s[8:9], v[6:7]
	v_cmp_ge_i64_e32 vcc_lo, s[10:11], v[2:3]
	v_add_nc_u64_e32 v[8:9], s[8:9], v[8:9]
	v_add_nc_u64_e32 v[12:13], s[8:9], v[12:13]
	;; [unrolled: 1-line block ×11, first 2 shown]
	s_cbranch_vccnz .LBB10_33
.LBB10_9:                               ; =>This Inner Loop Header: Depth=1
	v_add_nc_u64_e32 v[38:39], s[10:11], v[0:1]
	v_mov_b32_e32 v36, 0
	s_delay_alu instid0(VALU_DEP_2)
	v_cmp_lt_u64_e32 vcc_lo, v[38:39], v[4:5]
	v_mov_b32_e32 v38, 0
	s_and_saveexec_b32 s0, vcc_lo
	s_cbranch_execz .LBB10_11
; %bb.10:                               ;   in Loop: Header=BB10_9 Depth=1
	v_add_nc_u64_e32 v[38:39], s[6:7], v[6:7]
	v_add_nc_u64_e32 v[40:41], s[6:7], v[8:9]
	global_load_u16 v36, v[38:39], off
	global_load_u16 v42, v[40:41], off
	s_wait_loadcnt 0x1
	s_wait_xcnt 0x1
	v_cvt_f32_f16_e32 v38, v36
	s_wait_loadcnt 0x0
	v_cvt_f32_f16_e32 v36, v42
.LBB10_11:                              ;   in Loop: Header=BB10_9 Depth=1
	s_wait_xcnt 0x0
	s_or_b32 exec_lo, exec_lo, s0
	v_dual_mov_b32 v40, 0 :: v_dual_mov_b32 v39, 0
	s_and_saveexec_b32 s0, vcc_lo
	s_cbranch_execz .LBB10_13
; %bb.12:                               ;   in Loop: Header=BB10_9 Depth=1
	v_add_nc_u64_e32 v[42:43], s[6:7], v[12:13]
	global_load_u16 v39, v[42:43], off
	s_wait_loadcnt 0x0
	v_cvt_f32_f16_e32 v39, v39
.LBB10_13:                              ;   in Loop: Header=BB10_9 Depth=1
	s_wait_xcnt 0x0
	s_or_b32 exec_lo, exec_lo, s0
	v_add_nc_u64_e32 v[42:43], s[10:11], v[10:11]
	v_mov_b32_e32 v41, 0
	s_delay_alu instid0(VALU_DEP_2)
	v_cmp_lt_u64_e64 s0, v[42:43], v[4:5]
	s_and_saveexec_b32 s1, s0
	s_cbranch_execz .LBB10_15
; %bb.14:                               ;   in Loop: Header=BB10_9 Depth=1
	v_add_nc_u64_e32 v[40:41], s[6:7], v[30:31]
	v_add_nc_u64_e32 v[42:43], s[6:7], v[32:33]
	global_load_u16 v44, v[40:41], off
	global_load_u16 v45, v[42:43], off
	s_wait_loadcnt 0x1
	s_wait_xcnt 0x1
	v_cvt_f32_f16_e32 v41, v44
	s_wait_loadcnt 0x0
	v_cvt_f32_f16_e32 v40, v45
.LBB10_15:                              ;   in Loop: Header=BB10_9 Depth=1
	s_wait_xcnt 0x0
	s_or_b32 exec_lo, exec_lo, s1
	v_dual_mov_b32 v42, 0 :: v_dual_mov_b32 v43, 0
	s_and_saveexec_b32 s1, s0
	s_cbranch_execz .LBB10_17
; %bb.16:                               ;   in Loop: Header=BB10_9 Depth=1
	v_add_nc_u64_e32 v[44:45], s[6:7], v[34:35]
	global_load_u16 v43, v[44:45], off
	s_wait_loadcnt 0x0
	v_cvt_f32_f16_e32 v43, v43
.LBB10_17:                              ;   in Loop: Header=BB10_9 Depth=1
	s_wait_xcnt 0x0
	s_or_b32 exec_lo, exec_lo, s1
	v_add_nc_u64_e32 v[44:45], s[10:11], v[16:17]
	s_delay_alu instid0(VALU_DEP_1)
	v_cmp_lt_u64_e64 s1, v[44:45], v[4:5]
	v_mov_b32_e32 v44, 0
	s_and_saveexec_b32 s2, s1
	s_cbranch_execz .LBB10_19
; %bb.18:                               ;   in Loop: Header=BB10_9 Depth=1
	v_add_nc_u64_e32 v[44:45], s[6:7], v[18:19]
	v_add_nc_u64_e32 v[46:47], s[6:7], v[20:21]
	global_load_u16 v42, v[44:45], off
	global_load_u16 v48, v[46:47], off
	s_wait_loadcnt 0x1
	s_wait_xcnt 0x1
	v_cvt_f32_f16_e32 v44, v42
	s_wait_loadcnt 0x0
	v_cvt_f32_f16_e32 v42, v48
.LBB10_19:                              ;   in Loop: Header=BB10_9 Depth=1
	s_wait_xcnt 0x0
	s_or_b32 exec_lo, exec_lo, s2
	v_dual_mov_b32 v45, 0 :: v_dual_mov_b32 v46, 0
	s_and_saveexec_b32 s2, s1
	s_cbranch_execz .LBB10_21
; %bb.20:                               ;   in Loop: Header=BB10_9 Depth=1
	v_add_nc_u64_e32 v[46:47], s[6:7], v[22:23]
	global_load_u16 v46, v[46:47], off
	s_wait_loadcnt 0x0
	v_cvt_f32_f16_e32 v46, v46
.LBB10_21:                              ;   in Loop: Header=BB10_9 Depth=1
	s_or_b32 exec_lo, exec_lo, s2
	v_add_nc_u64_e32 v[48:49], s[10:11], v[14:15]
	v_mov_b32_e32 v47, 0
	s_delay_alu instid0(VALU_DEP_2)
	v_cmp_lt_u64_e64 s2, v[48:49], v[4:5]
	s_and_saveexec_b32 s3, s2
	s_cbranch_execnz .LBB10_27
; %bb.22:                               ;   in Loop: Header=BB10_9 Depth=1
	s_or_b32 exec_lo, exec_lo, s3
	v_mov_b32_e32 v48, 0
	s_and_saveexec_b32 s3, s2
	s_cbranch_execnz .LBB10_28
.LBB10_23:                              ;   in Loop: Header=BB10_9 Depth=1
	s_or_b32 exec_lo, exec_lo, s3
	s_and_saveexec_b32 s3, vcc_lo
	s_cbranch_execnz .LBB10_29
.LBB10_24:                              ;   in Loop: Header=BB10_9 Depth=1
	s_or_b32 exec_lo, exec_lo, s3
	s_and_saveexec_b32 s3, s0
	s_cbranch_execnz .LBB10_30
.LBB10_25:                              ;   in Loop: Header=BB10_9 Depth=1
	s_or_b32 exec_lo, exec_lo, s3
	s_and_saveexec_b32 s0, s1
	s_cbranch_execnz .LBB10_31
.LBB10_26:                              ;   in Loop: Header=BB10_9 Depth=1
	s_or_b32 exec_lo, exec_lo, s0
	s_and_saveexec_b32 s0, s2
	s_cbranch_execz .LBB10_8
	s_branch .LBB10_32
.LBB10_27:                              ;   in Loop: Header=BB10_9 Depth=1
	v_add_nc_u64_e32 v[48:49], s[6:7], v[24:25]
	v_add_nc_u64_e32 v[50:51], s[6:7], v[26:27]
	global_load_u16 v45, v[48:49], off
	global_load_u16 v52, v[50:51], off
	s_wait_loadcnt 0x1
	v_cvt_f32_f16_e32 v47, v45
	s_wait_loadcnt 0x0
	v_cvt_f32_f16_e32 v45, v52
	s_wait_xcnt 0x0
	s_or_b32 exec_lo, exec_lo, s3
	v_mov_b32_e32 v48, 0
	s_and_saveexec_b32 s3, s2
	s_cbranch_execz .LBB10_23
.LBB10_28:                              ;   in Loop: Header=BB10_9 Depth=1
	v_add_nc_u64_e32 v[48:49], s[6:7], v[28:29]
	global_load_u16 v48, v[48:49], off
	s_wait_loadcnt 0x0
	v_cvt_f32_f16_e32 v48, v48
	s_or_b32 exec_lo, exec_lo, s3
	s_and_saveexec_b32 s3, vcc_lo
	s_cbranch_execz .LBB10_24
.LBB10_29:                              ;   in Loop: Header=BB10_9 Depth=1
	v_pk_add_f32 v[50:51], v[36:37], v[38:39] neg_lo:[0,1] neg_hi:[0,1]
	v_cmp_lt_f32_e64 vcc_lo, |v39|, 0.5
	s_delay_alu instid0(VALU_DEP_2) | instskip(NEXT) | instid1(VALU_DEP_3)
	v_fmac_f32_e32 v38, v50, v39
	v_fma_f32 v36, -v50, v51, v36
	s_delay_alu instid0(VALU_DEP_1) | instskip(SKIP_1) | instid1(VALU_DEP_2)
	v_cndmask_b32_e32 v36, v36, v38, vcc_lo
	v_add_nc_u64_e32 v[38:39], s[6:7], v[6:7]
	v_cvt_f16_f32_e32 v36, v36
	global_store_b16 v[38:39], v36, off
	s_wait_xcnt 0x0
	s_or_b32 exec_lo, exec_lo, s3
	s_and_saveexec_b32 s3, s0
	s_cbranch_execz .LBB10_25
.LBB10_30:                              ;   in Loop: Header=BB10_9 Depth=1
	v_dual_sub_f32 v36, v40, v41 :: v_dual_sub_f32 v38, 1.0, v43
	v_cmp_lt_f32_e64 vcc_lo, |v43|, 0.5
	s_delay_alu instid0(VALU_DEP_2) | instskip(SKIP_1) | instid1(VALU_DEP_2)
	v_dual_fmac_f32 v41, v36, v43 :: v_dual_fma_f32 v36, -v36, v38, v40
	v_add_nc_u64_e32 v[38:39], s[6:7], v[30:31]
	v_cndmask_b32_e32 v36, v36, v41, vcc_lo
	s_delay_alu instid0(VALU_DEP_1)
	v_cvt_f16_f32_e32 v36, v36
	global_store_b16 v[38:39], v36, off
	s_wait_xcnt 0x0
	s_or_b32 exec_lo, exec_lo, s3
	s_and_saveexec_b32 s0, s1
	s_cbranch_execz .LBB10_26
.LBB10_31:                              ;   in Loop: Header=BB10_9 Depth=1
	v_dual_sub_f32 v36, v42, v44 :: v_dual_sub_f32 v38, 1.0, v46
	v_cmp_lt_f32_e64 vcc_lo, |v46|, 0.5
	s_delay_alu instid0(VALU_DEP_2) | instskip(NEXT) | instid1(VALU_DEP_3)
	v_fmac_f32_e32 v44, v36, v46
	v_fma_f32 v36, -v36, v38, v42
	v_add_nc_u64_e32 v[38:39], s[6:7], v[18:19]
	s_delay_alu instid0(VALU_DEP_2) | instskip(NEXT) | instid1(VALU_DEP_1)
	v_cndmask_b32_e32 v36, v36, v44, vcc_lo
	v_cvt_f16_f32_e32 v36, v36
	global_store_b16 v[38:39], v36, off
	s_wait_xcnt 0x0
	s_or_b32 exec_lo, exec_lo, s0
	s_and_saveexec_b32 s0, s2
	s_cbranch_execz .LBB10_8
.LBB10_32:                              ;   in Loop: Header=BB10_9 Depth=1
	v_dual_sub_f32 v36, v45, v47 :: v_dual_sub_f32 v38, 1.0, v48
	v_cmp_lt_f32_e64 vcc_lo, |v48|, 0.5
	s_delay_alu instid0(VALU_DEP_2) | instskip(SKIP_1) | instid1(VALU_DEP_2)
	v_dual_fmac_f32 v47, v36, v48 :: v_dual_fma_f32 v36, -v36, v38, v45
	v_add_nc_u64_e32 v[38:39], s[6:7], v[24:25]
	v_cndmask_b32_e32 v36, v36, v47, vcc_lo
	s_delay_alu instid0(VALU_DEP_1)
	v_cvt_f16_f32_e32 v36, v36
	global_store_b16 v[38:39], v36, off
	s_branch .LBB10_8
.LBB10_33:
	s_endpgm
	.section	.rodata,"a",@progbits
	.p2align	6, 0x0
	.amdhsa_kernel _ZN2at6native12_GLOBAL__N_125multi_tensor_apply_kernelINS1_18TensorListMetadataILi3EEENS1_20TernaryOpListFunctorIN3c104HalfELi3ELi3ELi0EEEJNS0_11LerpFunctorIfEEEEEvT_T0_DpT1_
		.amdhsa_group_segment_fixed_size 0
		.amdhsa_private_segment_fixed_size 0
		.amdhsa_kernarg_size 3408
		.amdhsa_user_sgpr_count 2
		.amdhsa_user_sgpr_dispatch_ptr 0
		.amdhsa_user_sgpr_queue_ptr 0
		.amdhsa_user_sgpr_kernarg_segment_ptr 1
		.amdhsa_user_sgpr_dispatch_id 0
		.amdhsa_user_sgpr_kernarg_preload_length 0
		.amdhsa_user_sgpr_kernarg_preload_offset 0
		.amdhsa_user_sgpr_private_segment_size 0
		.amdhsa_wavefront_size32 1
		.amdhsa_uses_dynamic_stack 0
		.amdhsa_enable_private_segment 0
		.amdhsa_system_sgpr_workgroup_id_x 1
		.amdhsa_system_sgpr_workgroup_id_y 0
		.amdhsa_system_sgpr_workgroup_id_z 0
		.amdhsa_system_sgpr_workgroup_info 0
		.amdhsa_system_vgpr_workitem_id 0
		.amdhsa_next_free_vgpr 53
		.amdhsa_next_free_sgpr 21
		.amdhsa_named_barrier_count 0
		.amdhsa_reserve_vcc 1
		.amdhsa_float_round_mode_32 0
		.amdhsa_float_round_mode_16_64 0
		.amdhsa_float_denorm_mode_32 3
		.amdhsa_float_denorm_mode_16_64 3
		.amdhsa_fp16_overflow 0
		.amdhsa_memory_ordered 1
		.amdhsa_forward_progress 1
		.amdhsa_inst_pref_size 15
		.amdhsa_round_robin_scheduling 0
		.amdhsa_exception_fp_ieee_invalid_op 0
		.amdhsa_exception_fp_denorm_src 0
		.amdhsa_exception_fp_ieee_div_zero 0
		.amdhsa_exception_fp_ieee_overflow 0
		.amdhsa_exception_fp_ieee_underflow 0
		.amdhsa_exception_fp_ieee_inexact 0
		.amdhsa_exception_int_div_zero 0
	.end_amdhsa_kernel
	.section	.text._ZN2at6native12_GLOBAL__N_125multi_tensor_apply_kernelINS1_18TensorListMetadataILi3EEENS1_20TernaryOpListFunctorIN3c104HalfELi3ELi3ELi0EEEJNS0_11LerpFunctorIfEEEEEvT_T0_DpT1_,"axG",@progbits,_ZN2at6native12_GLOBAL__N_125multi_tensor_apply_kernelINS1_18TensorListMetadataILi3EEENS1_20TernaryOpListFunctorIN3c104HalfELi3ELi3ELi0EEEJNS0_11LerpFunctorIfEEEEEvT_T0_DpT1_,comdat
.Lfunc_end10:
	.size	_ZN2at6native12_GLOBAL__N_125multi_tensor_apply_kernelINS1_18TensorListMetadataILi3EEENS1_20TernaryOpListFunctorIN3c104HalfELi3ELi3ELi0EEEJNS0_11LerpFunctorIfEEEEEvT_T0_DpT1_, .Lfunc_end10-_ZN2at6native12_GLOBAL__N_125multi_tensor_apply_kernelINS1_18TensorListMetadataILi3EEENS1_20TernaryOpListFunctorIN3c104HalfELi3ELi3ELi0EEEJNS0_11LerpFunctorIfEEEEEvT_T0_DpT1_
                                        ; -- End function
	.set _ZN2at6native12_GLOBAL__N_125multi_tensor_apply_kernelINS1_18TensorListMetadataILi3EEENS1_20TernaryOpListFunctorIN3c104HalfELi3ELi3ELi0EEEJNS0_11LerpFunctorIfEEEEEvT_T0_DpT1_.num_vgpr, 53
	.set _ZN2at6native12_GLOBAL__N_125multi_tensor_apply_kernelINS1_18TensorListMetadataILi3EEENS1_20TernaryOpListFunctorIN3c104HalfELi3ELi3ELi0EEEJNS0_11LerpFunctorIfEEEEEvT_T0_DpT1_.num_agpr, 0
	.set _ZN2at6native12_GLOBAL__N_125multi_tensor_apply_kernelINS1_18TensorListMetadataILi3EEENS1_20TernaryOpListFunctorIN3c104HalfELi3ELi3ELi0EEEJNS0_11LerpFunctorIfEEEEEvT_T0_DpT1_.numbered_sgpr, 21
	.set _ZN2at6native12_GLOBAL__N_125multi_tensor_apply_kernelINS1_18TensorListMetadataILi3EEENS1_20TernaryOpListFunctorIN3c104HalfELi3ELi3ELi0EEEJNS0_11LerpFunctorIfEEEEEvT_T0_DpT1_.num_named_barrier, 0
	.set _ZN2at6native12_GLOBAL__N_125multi_tensor_apply_kernelINS1_18TensorListMetadataILi3EEENS1_20TernaryOpListFunctorIN3c104HalfELi3ELi3ELi0EEEJNS0_11LerpFunctorIfEEEEEvT_T0_DpT1_.private_seg_size, 0
	.set _ZN2at6native12_GLOBAL__N_125multi_tensor_apply_kernelINS1_18TensorListMetadataILi3EEENS1_20TernaryOpListFunctorIN3c104HalfELi3ELi3ELi0EEEJNS0_11LerpFunctorIfEEEEEvT_T0_DpT1_.uses_vcc, 1
	.set _ZN2at6native12_GLOBAL__N_125multi_tensor_apply_kernelINS1_18TensorListMetadataILi3EEENS1_20TernaryOpListFunctorIN3c104HalfELi3ELi3ELi0EEEJNS0_11LerpFunctorIfEEEEEvT_T0_DpT1_.uses_flat_scratch, 0
	.set _ZN2at6native12_GLOBAL__N_125multi_tensor_apply_kernelINS1_18TensorListMetadataILi3EEENS1_20TernaryOpListFunctorIN3c104HalfELi3ELi3ELi0EEEJNS0_11LerpFunctorIfEEEEEvT_T0_DpT1_.has_dyn_sized_stack, 0
	.set _ZN2at6native12_GLOBAL__N_125multi_tensor_apply_kernelINS1_18TensorListMetadataILi3EEENS1_20TernaryOpListFunctorIN3c104HalfELi3ELi3ELi0EEEJNS0_11LerpFunctorIfEEEEEvT_T0_DpT1_.has_recursion, 0
	.set _ZN2at6native12_GLOBAL__N_125multi_tensor_apply_kernelINS1_18TensorListMetadataILi3EEENS1_20TernaryOpListFunctorIN3c104HalfELi3ELi3ELi0EEEJNS0_11LerpFunctorIfEEEEEvT_T0_DpT1_.has_indirect_call, 0
	.section	.AMDGPU.csdata,"",@progbits
; Kernel info:
; codeLenInByte = 1900
; TotalNumSgprs: 23
; NumVgprs: 53
; ScratchSize: 0
; MemoryBound: 0
; FloatMode: 240
; IeeeMode: 1
; LDSByteSize: 0 bytes/workgroup (compile time only)
; SGPRBlocks: 0
; VGPRBlocks: 3
; NumSGPRsForWavesPerEU: 23
; NumVGPRsForWavesPerEU: 53
; NamedBarCnt: 0
; Occupancy: 16
; WaveLimiterHint : 0
; COMPUTE_PGM_RSRC2:SCRATCH_EN: 0
; COMPUTE_PGM_RSRC2:USER_SGPR: 2
; COMPUTE_PGM_RSRC2:TRAP_HANDLER: 0
; COMPUTE_PGM_RSRC2:TGID_X_EN: 1
; COMPUTE_PGM_RSRC2:TGID_Y_EN: 0
; COMPUTE_PGM_RSRC2:TGID_Z_EN: 0
; COMPUTE_PGM_RSRC2:TIDIG_COMP_CNT: 0
	.section	.text._ZN2at6native12_GLOBAL__N_125multi_tensor_apply_kernelINS1_18TensorListMetadataILi3EEENS1_20TernaryOpListFunctorIN3c108BFloat16ELi3ELi3ELi0EEEJNS0_11LerpFunctorIfEEEEEvT_T0_DpT1_,"axG",@progbits,_ZN2at6native12_GLOBAL__N_125multi_tensor_apply_kernelINS1_18TensorListMetadataILi3EEENS1_20TernaryOpListFunctorIN3c108BFloat16ELi3ELi3ELi0EEEJNS0_11LerpFunctorIfEEEEEvT_T0_DpT1_,comdat
	.globl	_ZN2at6native12_GLOBAL__N_125multi_tensor_apply_kernelINS1_18TensorListMetadataILi3EEENS1_20TernaryOpListFunctorIN3c108BFloat16ELi3ELi3ELi0EEEJNS0_11LerpFunctorIfEEEEEvT_T0_DpT1_ ; -- Begin function _ZN2at6native12_GLOBAL__N_125multi_tensor_apply_kernelINS1_18TensorListMetadataILi3EEENS1_20TernaryOpListFunctorIN3c108BFloat16ELi3ELi3ELi0EEEJNS0_11LerpFunctorIfEEEEEvT_T0_DpT1_
	.p2align	8
	.type	_ZN2at6native12_GLOBAL__N_125multi_tensor_apply_kernelINS1_18TensorListMetadataILi3EEENS1_20TernaryOpListFunctorIN3c108BFloat16ELi3ELi3ELi0EEEJNS0_11LerpFunctorIfEEEEEvT_T0_DpT1_,@function
_ZN2at6native12_GLOBAL__N_125multi_tensor_apply_kernelINS1_18TensorListMetadataILi3EEENS1_20TernaryOpListFunctorIN3c108BFloat16ELi3ELi3ELi0EEEJNS0_11LerpFunctorIfEEEEEvT_T0_DpT1_: ; @_ZN2at6native12_GLOBAL__N_125multi_tensor_apply_kernelINS1_18TensorListMetadataILi3EEENS1_20TernaryOpListFunctorIN3c108BFloat16ELi3ELi3ELi0EEEJNS0_11LerpFunctorIfEEEEEvT_T0_DpT1_
; %bb.0:
	s_bfe_u32 s2, ttmp6, 0x4000c
	s_and_b32 s3, ttmp6, 15
	s_add_co_i32 s2, s2, 1
	s_getreg_b32 s4, hwreg(HW_REG_IB_STS2, 6, 4)
	s_mul_i32 s2, ttmp9, s2
	s_delay_alu instid0(SALU_CYCLE_1)
	s_add_co_i32 s3, s3, s2
	s_cmp_eq_u32 s4, 0
	s_cselect_b32 s2, ttmp9, s3
	s_mov_b32 s3, 0
	s_load_u8 s16, s[0:1], s2 offset:0x600
	s_add_nc_u64 s[4:5], s[0:1], s[2:3]
	s_mul_u64 s[6:7], s[2:3], 3
	s_delay_alu instid0(SALU_CYCLE_1)
	s_add_nc_u64 s[4:5], s[4:5], s[6:7]
	s_load_b32 s6, s[4:5], 0x740
	s_wait_kmcnt 0x0
	s_clause 0x3
	s_load_b64 s[8:9], s[0:1], s16 offset:0x180 scale_offset
	s_load_b64 s[10:11], s[0:1], s16 offset:0x300 scale_offset
	;; [unrolled: 1-line block ×4, first 2 shown]
	s_ashr_i32 s7, s6, 31
	s_delay_alu instid0(SALU_CYCLE_1) | instskip(SKIP_2) | instid1(SALU_CYCLE_1)
	s_lshl_b64 s[4:5], s[6:7], 17
	s_wait_kmcnt 0x0
	s_add_nc_u64 s[16:17], s[8:9], s[4:5]
	s_or_b32 s2, s10, s16
	s_and_b64 s[16:17], s[12:13], 7
	s_and_b32 s2, s2, 7
	s_delay_alu instid0(SALU_CYCLE_1)
	s_cmp_lg_u32 s2, 0
	s_cselect_b32 s18, -1, 0
	s_and_b32 s2, s14, 3
	s_lshl_b64 s[6:7], s[6:7], 16
	s_or_b64 s[2:3], s[16:17], s[2:3]
	s_sub_nc_u64 s[14:15], s[14:15], s[6:7]
	s_cmp_lg_u64 s[2:3], 0
	s_cselect_b32 s2, -1, 0
	s_delay_alu instid0(SALU_CYCLE_1) | instskip(NEXT) | instid1(SALU_CYCLE_1)
	s_or_b32 s2, s18, s2
	s_and_not1_b32 vcc_lo, exec_lo, s2
	s_mov_b32 s2, -1
	s_cbranch_vccz .LBB11_5
; %bb.1:
	v_min_i64 v[2:3], 0x10000, s[14:15]
	v_dual_mov_b32 v5, 0 :: v_dual_lshlrev_b32 v4, 2, v0
	s_mov_b32 s18, exec_lo
	s_delay_alu instid0(VALU_DEP_1)
	v_cmpx_lt_i64_e64 v[4:5], v[2:3]
	s_cbranch_execz .LBB11_4
; %bb.2:
	s_load_b32 s2, s[0:1], 0xc5c
	v_dual_mov_b32 v1, v5 :: v_dual_lshlrev_b32 v4, 3, v0
	s_mov_b32 s7, 0
	s_delay_alu instid0(SALU_CYCLE_1) | instskip(NEXT) | instid1(VALU_DEP_1)
	s_mov_b32 s17, s7
	v_add_nc_u64_e32 v[4:5], s[4:5], v[4:5]
	s_delay_alu instid0(VALU_DEP_2) | instskip(SKIP_3) | instid1(SALU_CYCLE_1)
	v_mov_b64_e32 v[6:7], v[0:1]
	s_mov_b32 s19, s7
	s_wait_kmcnt 0x0
	s_and_b32 s6, s2, 0xffff
	s_lshl_b32 s16, s6, 3
.LBB11_3:                               ; =>This Inner Loop Header: Depth=1
	s_delay_alu instid0(VALU_DEP_2)
	v_add_nc_u64_e32 v[8:9], s[12:13], v[4:5]
	v_add_nc_u64_e32 v[10:11], s[8:9], v[4:5]
	;; [unrolled: 1-line block ×5, first 2 shown]
	global_load_b64 v[14:15], v[8:9], off
	global_load_b64 v[16:17], v[10:11], off
	global_load_b64 v[18:19], v[12:13], off
	s_wait_xcnt 0x1
	v_lshlrev_b64_e32 v[10:11], 2, v[6:7]
	s_wait_loadcnt 0x1
	s_wait_xcnt 0x0
	v_dual_lshlrev_b32 v1, 16, v14 :: v_dual_lshlrev_b32 v12, 16, v16
	s_wait_loadcnt 0x0
	v_lshlrev_b32_e32 v13, 16, v18
	v_and_b32_e32 v20, 0xffff0000, v14
	v_and_b32_e32 v21, 0xffff0000, v16
	;; [unrolled: 1-line block ×3, first 2 shown]
	v_alignbit_b32 v23, v15, v14, 16
	v_alignbit_b32 v24, v17, v16, 16
	;; [unrolled: 1-line block ×3, first 2 shown]
	v_and_b32_e32 v26, 0xffff0000, v15
	v_and_b32_e32 v27, 0xffff0000, v17
	;; [unrolled: 1-line block ×3, first 2 shown]
	v_sub_f32_e32 v1, v12, v1
	v_dual_sub_f32 v12, 1.0, v13 :: v_dual_sub_f32 v20, v21, v20
	v_sub_f32_e32 v21, 1.0, v22
	v_and_b32_e32 v29, 0xffff0000, v23
	v_and_b32_e32 v30, 0xffff0000, v24
	;; [unrolled: 1-line block ×3, first 2 shown]
	v_dual_sub_f32 v26, v27, v26 :: v_dual_sub_f32 v27, 1.0, v28
	v_fma_mix_f32_bf16 v32, v1, v18, v14 op_sel_hi:[0,1,1]
	v_fma_mix_f32_bf16 v1, -v1, v12, v16 op_sel_hi:[0,0,1]
	v_fma_mix_f32_bf16 v12, v20, v18, v14 op_sel:[0,1,1] op_sel_hi:[0,1,1]
	v_fma_mix_f32_bf16 v14, -v20, v21, v16 op_sel:[0,0,1] op_sel_hi:[0,0,1]
	v_cmp_lt_f32_e64 vcc_lo, |v22|, 0.5
	v_cmp_lt_f32_e64 s3, |v13|, 0.5
	v_dual_sub_f32 v16, v30, v29 :: v_dual_sub_f32 v18, 1.0, v31
	v_fma_mix_f32_bf16 v15, v26, v19, v15 op_sel:[0,1,1] op_sel_hi:[0,1,1]
	v_fma_mix_f32_bf16 v17, -v26, v27, v17 op_sel:[0,0,1] op_sel_hi:[0,0,1]
	v_cmp_lt_f32_e64 s2, |v28|, 0.5
	v_cndmask_b32_e64 v1, v1, v32, s3
	v_cndmask_b32_e32 v12, v14, v12, vcc_lo
	v_fma_mix_f32_bf16 v13, v16, v25, v23 op_sel:[0,1,1] op_sel_hi:[0,1,1]
	v_fma_mix_f32_bf16 v14, -v16, v18, v24 op_sel:[0,0,1] op_sel_hi:[0,0,1]
	v_cmp_lt_f32_e64 vcc_lo, |v31|, 0.5
	v_cndmask_b32_e64 v15, v17, v15, s2
	v_bfe_u32 v16, v1, 16, 1
	v_bfe_u32 v17, v12, 16, 1
	v_cmp_o_f32_e64 s2, v1, v1
	s_delay_alu instid0(VALU_DEP_3)
	v_add3_u32 v16, v1, v16, 0x7fff
	v_cndmask_b32_e32 v13, v14, v13, vcc_lo
	v_bfe_u32 v14, v15, 16, 1
	v_add3_u32 v17, v12, v17, 0x7fff
	v_cmp_o_f32_e32 vcc_lo, v12, v12
	v_lshrrev_b32_e32 v16, 16, v16
	v_bfe_u32 v18, v13, 16, 1
	v_add3_u32 v14, v15, v14, 0x7fff
	v_and_b32_e32 v17, 0xffff0000, v17
	s_delay_alu instid0(VALU_DEP_4) | instskip(NEXT) | instid1(VALU_DEP_4)
	v_cndmask_b32_e64 v1, 0x7fc0, v16, s2
	v_add3_u32 v18, v13, v18, 0x7fff
	s_delay_alu instid0(VALU_DEP_4) | instskip(NEXT) | instid1(VALU_DEP_4)
	v_and_b32_e32 v12, 0xffff0000, v14
	v_cndmask_b32_e32 v16, 0x7fc00000, v17, vcc_lo
	v_cmp_o_f32_e32 vcc_lo, v15, v15
	s_delay_alu instid0(VALU_DEP_2) | instskip(NEXT) | instid1(VALU_DEP_4)
	v_dual_lshrrev_b32 v14, 16, v18 :: v_dual_bitop2_b32 v1, v1, v16 bitop3:0x54
	v_cndmask_b32_e32 v12, 0x7fc00000, v12, vcc_lo
	v_cmp_o_f32_e32 vcc_lo, v13, v13
	s_delay_alu instid0(VALU_DEP_3) | instskip(SKIP_2) | instid1(VALU_DEP_3)
	v_cndmask_b32_e32 v13, 0x7fc0, v14, vcc_lo
	v_cmp_ge_i64_e32 vcc_lo, v[10:11], v[2:3]
	v_or3_b32 v10, v1, 0, 0
	v_or3_b32 v11, 0, v13, v12
	s_or_b32 s19, vcc_lo, s19
	global_store_b64 v[8:9], v[10:11], off
	s_wait_xcnt 0x0
	s_and_not1_b32 exec_lo, exec_lo, s19
	s_cbranch_execnz .LBB11_3
.LBB11_4:
	s_or_b32 exec_lo, exec_lo, s18
	s_mov_b32 s2, 0
.LBB11_5:
	s_delay_alu instid0(SALU_CYCLE_1)
	s_and_not1_b32 vcc_lo, exec_lo, s2
	s_cbranch_vccnz .LBB11_33
; %bb.6:
	v_cmp_lt_i64_e64 s2, s[14:15], 1
	s_and_b32 vcc_lo, exec_lo, s2
	s_cbranch_vccnz .LBB11_33
; %bb.7:
	s_load_b32 s0, s[0:1], 0xc5c
	v_min_i64 v[2:3], 0x10000, s[14:15]
	v_min_u64 v[6:7], 0x10000, s[14:15]
	v_dual_mov_b32 v4, 0 :: v_dual_lshlrev_b32 v14, 1, v0
	s_mov_b32 s7, 0
	v_mov_b32_e32 v39, 1.0
	s_wait_xcnt 0x0
	s_mov_b32 s1, s7
	v_dual_mov_b32 v15, v4 :: v_dual_mov_b32 v1, v4
	s_mov_b32 s3, s7
	s_mov_b32 s15, s7
	s_delay_alu instid0(VALU_DEP_1) | instskip(SKIP_3) | instid1(SALU_CYCLE_1)
	v_add_nc_u64_e32 v[8:9], s[12:13], v[14:15]
	v_add_nc_u64_e32 v[10:11], s[8:9], v[14:15]
	s_wait_kmcnt 0x0
	s_and_b32 s0, s0, 0xffff
	v_add_nc_u64_e32 v[12:13], s[0:1], v[0:1]
	v_mad_nc_u64_u32 v[30:31], s0, 6, v[14:15]
	s_lshl_b32 s6, s0, 2
	v_mov_b32_e32 v37, v4
	v_add_nc_u64_e32 v[24:25], s[6:7], v[14:15]
	s_mul_i32 s14, s0, 3
	s_lshl_b32 s2, s0, 1
	v_lshlrev_b32_e32 v36, 1, v12
	v_add_nc_u64_e32 v[14:15], s[10:11], v[14:15]
	v_add_nc_u64_e32 v[16:17], s[14:15], v[0:1]
	;; [unrolled: 1-line block ×12, first 2 shown]
	s_lshl_b32 s8, s0, 3
	s_mov_b32 s9, s7
	s_mov_b64 s[10:11], 0
	s_branch .LBB11_9
.LBB11_8:                               ;   in Loop: Header=BB11_9 Depth=1
	s_wait_xcnt 0x0
	s_or_b32 exec_lo, exec_lo, s0
	s_add_nc_u64 s[10:11], s[10:11], s[6:7]
	v_add_nc_u64_e32 v[8:9], s[8:9], v[8:9]
	v_cmp_ge_i64_e32 vcc_lo, s[10:11], v[2:3]
	v_add_nc_u64_e32 v[10:11], s[8:9], v[10:11]
	v_add_nc_u64_e32 v[14:15], s[8:9], v[14:15]
	;; [unrolled: 1-line block ×11, first 2 shown]
	s_cbranch_vccnz .LBB11_33
.LBB11_9:                               ; =>This Inner Loop Header: Depth=1
	v_add_nc_u64_e32 v[44:45], s[10:11], v[0:1]
	v_mov_b64_e32 v[40:41], 0
	v_mov_b64_e32 v[42:43], 0
	s_delay_alu instid0(VALU_DEP_3)
	v_cmp_lt_u64_e32 vcc_lo, v[44:45], v[6:7]
	v_mov_b64_e32 v[44:45], 0
	s_and_saveexec_b32 s0, vcc_lo
	s_cbranch_execz .LBB11_11
; %bb.10:                               ;   in Loop: Header=BB11_9 Depth=1
	v_add_nc_u64_e32 v[42:43], s[4:5], v[8:9]
	v_add_nc_u64_e32 v[44:45], s[4:5], v[10:11]
	global_load_u16 v5, v[42:43], off
	global_load_u16 v38, v[44:45], off
	s_wait_xcnt 0x0
	v_dual_mov_b32 v45, s7 :: v_dual_mov_b32 v43, s7
	s_wait_loadcnt 0x1
	v_and_b32_e32 v44, 0xffff, v5
	s_wait_loadcnt 0x0
	v_and_b32_e32 v42, 0xffff, v38
.LBB11_11:                              ;   in Loop: Header=BB11_9 Depth=1
	s_or_b32 exec_lo, exec_lo, s0
	s_and_saveexec_b32 s0, vcc_lo
	s_cbranch_execz .LBB11_13
; %bb.12:                               ;   in Loop: Header=BB11_9 Depth=1
	v_add_nc_u64_e32 v[40:41], s[4:5], v[14:15]
	global_load_u16 v5, v[40:41], off
	s_wait_xcnt 0x0
	v_mov_b32_e32 v41, s7
	s_wait_loadcnt 0x0
	v_and_b32_e32 v40, 0xffff, v5
.LBB11_13:                              ;   in Loop: Header=BB11_9 Depth=1
	s_or_b32 exec_lo, exec_lo, s0
	v_add_nc_u64_e32 v[46:47], s[10:11], v[12:13]
	s_delay_alu instid0(VALU_DEP_1)
	v_cmp_lt_u64_e64 s0, v[46:47], v[6:7]
	s_and_saveexec_b32 s1, s0
	s_cbranch_execz .LBB11_15
; %bb.14:                               ;   in Loop: Header=BB11_9 Depth=1
	v_add_nc_u64_e32 v[46:47], s[4:5], v[32:33]
	v_add_nc_u64_e32 v[48:49], s[4:5], v[34:35]
	global_load_u16 v5, v[46:47], off
	global_load_u16 v38, v[48:49], off
	s_wait_loadcnt 0x1
	v_lshl_or_b32 v44, v5, 16, v44
	s_wait_loadcnt 0x0
	v_lshl_or_b32 v42, v38, 16, v42
.LBB11_15:                              ;   in Loop: Header=BB11_9 Depth=1
	s_wait_xcnt 0x0
	s_or_b32 exec_lo, exec_lo, s1
	s_and_saveexec_b32 s1, s0
	s_cbranch_execz .LBB11_17
; %bb.16:                               ;   in Loop: Header=BB11_9 Depth=1
	v_add_nc_u64_e32 v[46:47], s[4:5], v[36:37]
	global_load_u16 v5, v[46:47], off
	s_wait_loadcnt 0x0
	v_lshl_or_b32 v40, v5, 16, v40
.LBB11_17:                              ;   in Loop: Header=BB11_9 Depth=1
	s_wait_xcnt 0x0
	s_or_b32 exec_lo, exec_lo, s1
	v_add_nc_u64_e32 v[46:47], s[10:11], v[18:19]
	s_delay_alu instid0(VALU_DEP_1) | instskip(SKIP_2) | instid1(SALU_CYCLE_1)
	v_cmp_lt_u64_e64 s1, v[46:47], v[6:7]
	v_cmp_ge_u64_e64 s2, v[46:47], v[6:7]
	s_and_saveexec_b32 s3, s2
	s_xor_b32 s2, exec_lo, s3
	s_delay_alu instid0(SALU_CYCLE_1)
	s_and_not1_saveexec_b32 s2, s2
	s_cbranch_execz .LBB11_19
; %bb.18:                               ;   in Loop: Header=BB11_9 Depth=1
	v_add_nc_u64_e32 v[46:47], s[4:5], v[20:21]
	v_add_nc_u64_e32 v[48:49], s[4:5], v[22:23]
	global_load_u16 v5, v[46:47], off
	global_load_u16 v38, v[48:49], off
	s_wait_loadcnt 0x1
	v_or_b32_e32 v45, v5, v45
	s_wait_loadcnt 0x0
	v_or_b32_e32 v43, v38, v43
.LBB11_19:                              ;   in Loop: Header=BB11_9 Depth=1
	s_wait_xcnt 0x0
	s_or_b32 exec_lo, exec_lo, s2
	s_and_saveexec_b32 s2, s1
	s_cbranch_execz .LBB11_21
; %bb.20:                               ;   in Loop: Header=BB11_9 Depth=1
	v_add_nc_u64_e32 v[46:47], s[4:5], v[24:25]
	global_load_u16 v5, v[46:47], off
	s_wait_loadcnt 0x0
	v_or_b32_e32 v41, v5, v41
.LBB11_21:                              ;   in Loop: Header=BB11_9 Depth=1
	s_wait_xcnt 0x0
	s_or_b32 exec_lo, exec_lo, s2
	v_add_nc_u64_e32 v[46:47], s[10:11], v[16:17]
	s_delay_alu instid0(VALU_DEP_1)
	v_cmp_lt_u64_e64 s2, v[46:47], v[6:7]
	s_and_saveexec_b32 s3, s2
	s_cbranch_execnz .LBB11_27
; %bb.22:                               ;   in Loop: Header=BB11_9 Depth=1
	s_or_b32 exec_lo, exec_lo, s3
	s_and_saveexec_b32 s3, s2
	s_cbranch_execnz .LBB11_28
.LBB11_23:                              ;   in Loop: Header=BB11_9 Depth=1
	s_or_b32 exec_lo, exec_lo, s3
	s_and_saveexec_b32 s3, vcc_lo
	s_cbranch_execnz .LBB11_29
.LBB11_24:                              ;   in Loop: Header=BB11_9 Depth=1
	s_or_b32 exec_lo, exec_lo, s3
	s_and_saveexec_b32 s3, s0
	s_cbranch_execnz .LBB11_30
.LBB11_25:                              ;   in Loop: Header=BB11_9 Depth=1
	s_or_b32 exec_lo, exec_lo, s3
	s_and_saveexec_b32 s0, s1
	s_cbranch_execnz .LBB11_31
.LBB11_26:                              ;   in Loop: Header=BB11_9 Depth=1
	s_or_b32 exec_lo, exec_lo, s0
	s_and_saveexec_b32 s0, s2
	s_cbranch_execz .LBB11_8
	s_branch .LBB11_32
.LBB11_27:                              ;   in Loop: Header=BB11_9 Depth=1
	v_add_nc_u64_e32 v[46:47], s[4:5], v[28:29]
	v_add_nc_u64_e32 v[48:49], s[4:5], v[26:27]
	global_load_u16 v5, v[46:47], off
	global_load_u16 v38, v[48:49], off
	s_wait_loadcnt 0x0
	v_dual_lshlrev_b32 v5, 16, v5 :: v_dual_lshlrev_b32 v38, 16, v38
	s_delay_alu instid0(VALU_DEP_1) | instskip(NEXT) | instid1(VALU_DEP_2)
	v_add_nc_u64_e32 v[42:43], v[4:5], v[42:43]
	v_or_b32_e32 v45, v38, v45
	s_wait_xcnt 0x0
	s_or_b32 exec_lo, exec_lo, s3
	s_and_saveexec_b32 s3, s2
	s_cbranch_execz .LBB11_23
.LBB11_28:                              ;   in Loop: Header=BB11_9 Depth=1
	v_add_nc_u64_e32 v[46:47], s[4:5], v[30:31]
	global_load_u16 v5, v[46:47], off
	s_wait_loadcnt 0x0
	v_lshlrev_b32_e32 v5, 16, v5
	s_delay_alu instid0(VALU_DEP_1)
	v_or_b32_e32 v41, v5, v41
	s_wait_xcnt 0x0
	s_or_b32 exec_lo, exec_lo, s3
	s_and_saveexec_b32 s3, vcc_lo
	s_cbranch_execz .LBB11_24
.LBB11_29:                              ;   in Loop: Header=BB11_9 Depth=1
	v_dual_lshlrev_b32 v47, 16, v40 :: v_dual_lshlrev_b32 v38, 16, v42
	s_delay_alu instid0(VALU_DEP_1) | instskip(SKIP_1) | instid1(VALU_DEP_1)
	v_cmp_lt_f32_e64 vcc_lo, |v47|, 0.5
	v_lshlrev_b32_e32 v46, 16, v44
	v_pk_add_f32 v[48:49], v[38:39], v[46:47] neg_lo:[0,1] neg_hi:[0,1]
	v_add_nc_u64_e32 v[46:47], s[4:5], v[8:9]
	s_delay_alu instid0(VALU_DEP_2) | instskip(NEXT) | instid1(VALU_DEP_3)
	v_fma_mix_f32_bf16 v5, v48, v40, v44 op_sel_hi:[0,1,1]
	v_fma_mix_f32_bf16 v38, -v48, v49, v42 op_sel_hi:[0,0,1]
	s_delay_alu instid0(VALU_DEP_1) | instskip(NEXT) | instid1(VALU_DEP_1)
	v_cndmask_b32_e32 v5, v38, v5, vcc_lo
	v_bfe_u32 v38, v5, 16, 1
	v_cmp_o_f32_e32 vcc_lo, v5, v5
	s_delay_alu instid0(VALU_DEP_2) | instskip(NEXT) | instid1(VALU_DEP_1)
	v_add3_u32 v38, v5, v38, 0x7fff
	v_lshrrev_b32_e32 v38, 16, v38
	s_delay_alu instid0(VALU_DEP_1)
	v_cndmask_b32_e32 v5, 0x7fc0, v38, vcc_lo
	global_store_b16 v[46:47], v5, off
	s_wait_xcnt 0x0
	s_or_b32 exec_lo, exec_lo, s3
	s_and_saveexec_b32 s3, s0
	s_cbranch_execz .LBB11_25
.LBB11_30:                              ;   in Loop: Header=BB11_9 Depth=1
	v_and_b32_e32 v38, 0xffff0000, v42
	v_and_b32_e32 v47, 0xffff0000, v40
	;; [unrolled: 1-line block ×3, first 2 shown]
	s_delay_alu instid0(VALU_DEP_2) | instskip(NEXT) | instid1(VALU_DEP_2)
	v_cmp_lt_f32_e64 vcc_lo, |v47|, 0.5
	v_pk_add_f32 v[48:49], v[38:39], v[46:47] neg_lo:[0,1] neg_hi:[0,1]
	s_delay_alu instid0(VALU_DEP_1) | instskip(NEXT) | instid1(VALU_DEP_2)
	v_fmac_f32_e32 v46, v48, v47
	v_fma_mix_f32_bf16 v5, -v48, v49, v42 op_sel:[0,0,1] op_sel_hi:[0,0,1]
	s_delay_alu instid0(VALU_DEP_1) | instskip(SKIP_1) | instid1(VALU_DEP_2)
	v_cndmask_b32_e32 v5, v5, v46, vcc_lo
	v_add_nc_u64_e32 v[46:47], s[4:5], v[32:33]
	v_bfe_u32 v38, v5, 16, 1
	v_cmp_o_f32_e32 vcc_lo, v5, v5
	s_delay_alu instid0(VALU_DEP_2) | instskip(NEXT) | instid1(VALU_DEP_1)
	v_add3_u32 v38, v5, v38, 0x7fff
	v_lshrrev_b32_e32 v38, 16, v38
	s_delay_alu instid0(VALU_DEP_1)
	v_cndmask_b32_e32 v5, 0x7fc0, v38, vcc_lo
	global_store_b16 v[46:47], v5, off
	s_wait_xcnt 0x0
	s_or_b32 exec_lo, exec_lo, s3
	s_and_saveexec_b32 s0, s1
	s_cbranch_execz .LBB11_26
.LBB11_31:                              ;   in Loop: Header=BB11_9 Depth=1
	v_alignbit_b32 v5, v43, v42, 16
	v_alignbit_b32 v40, v41, v40, 16
	;; [unrolled: 1-line block ×3, first 2 shown]
	s_delay_alu instid0(VALU_DEP_3) | instskip(NEXT) | instid1(VALU_DEP_3)
	v_and_b32_e32 v38, 0xffff0000, v5
	v_and_b32_e32 v47, 0xffff0000, v40
	s_delay_alu instid0(VALU_DEP_3) | instskip(NEXT) | instid1(VALU_DEP_2)
	v_and_b32_e32 v46, 0xffff0000, v42
	v_cmp_lt_f32_e64 vcc_lo, |v47|, 0.5
	s_delay_alu instid0(VALU_DEP_2) | instskip(NEXT) | instid1(VALU_DEP_1)
	v_pk_add_f32 v[48:49], v[38:39], v[46:47] neg_lo:[0,1] neg_hi:[0,1]
	v_fmac_f32_e32 v46, v48, v47
	s_delay_alu instid0(VALU_DEP_2) | instskip(NEXT) | instid1(VALU_DEP_1)
	v_fma_mix_f32_bf16 v5, -v48, v49, v5 op_sel:[0,0,1] op_sel_hi:[0,0,1]
	v_cndmask_b32_e32 v5, v5, v46, vcc_lo
	v_add_nc_u64_e32 v[46:47], s[4:5], v[20:21]
	s_delay_alu instid0(VALU_DEP_2) | instskip(SKIP_1) | instid1(VALU_DEP_2)
	v_bfe_u32 v38, v5, 16, 1
	v_cmp_o_f32_e32 vcc_lo, v5, v5
	v_add3_u32 v38, v5, v38, 0x7fff
	s_delay_alu instid0(VALU_DEP_1) | instskip(NEXT) | instid1(VALU_DEP_1)
	v_lshrrev_b32_e32 v38, 16, v38
	v_cndmask_b32_e32 v5, 0x7fc0, v38, vcc_lo
	global_store_b16 v[46:47], v5, off
	s_wait_xcnt 0x0
	s_or_b32 exec_lo, exec_lo, s0
	s_and_saveexec_b32 s0, s2
	s_cbranch_execz .LBB11_8
.LBB11_32:                              ;   in Loop: Header=BB11_9 Depth=1
	v_and_b32_e32 v38, 0xffff0000, v43
	v_and_b32_e32 v41, 0xffff0000, v41
	;; [unrolled: 1-line block ×3, first 2 shown]
	s_delay_alu instid0(VALU_DEP_2) | instskip(NEXT) | instid1(VALU_DEP_2)
	v_cmp_lt_f32_e64 vcc_lo, |v41|, 0.5
	v_pk_add_f32 v[44:45], v[38:39], v[40:41] neg_lo:[0,1] neg_hi:[0,1]
	s_delay_alu instid0(VALU_DEP_1) | instskip(NEXT) | instid1(VALU_DEP_2)
	v_fmac_f32_e32 v40, v44, v41
	v_fma_mix_f32_bf16 v5, -v44, v45, v43 op_sel:[0,0,1] op_sel_hi:[0,0,1]
	s_delay_alu instid0(VALU_DEP_1) | instskip(SKIP_1) | instid1(VALU_DEP_2)
	v_cndmask_b32_e32 v5, v5, v40, vcc_lo
	v_add_nc_u64_e32 v[40:41], s[4:5], v[26:27]
	v_bfe_u32 v38, v5, 16, 1
	v_cmp_o_f32_e32 vcc_lo, v5, v5
	s_delay_alu instid0(VALU_DEP_2) | instskip(NEXT) | instid1(VALU_DEP_1)
	v_add3_u32 v38, v5, v38, 0x7fff
	v_lshrrev_b32_e32 v38, 16, v38
	s_delay_alu instid0(VALU_DEP_1)
	v_cndmask_b32_e32 v5, 0x7fc0, v38, vcc_lo
	global_store_b16 v[40:41], v5, off
	s_branch .LBB11_8
.LBB11_33:
	s_endpgm
	.section	.rodata,"a",@progbits
	.p2align	6, 0x0
	.amdhsa_kernel _ZN2at6native12_GLOBAL__N_125multi_tensor_apply_kernelINS1_18TensorListMetadataILi3EEENS1_20TernaryOpListFunctorIN3c108BFloat16ELi3ELi3ELi0EEEJNS0_11LerpFunctorIfEEEEEvT_T0_DpT1_
		.amdhsa_group_segment_fixed_size 0
		.amdhsa_private_segment_fixed_size 0
		.amdhsa_kernarg_size 3408
		.amdhsa_user_sgpr_count 2
		.amdhsa_user_sgpr_dispatch_ptr 0
		.amdhsa_user_sgpr_queue_ptr 0
		.amdhsa_user_sgpr_kernarg_segment_ptr 1
		.amdhsa_user_sgpr_dispatch_id 0
		.amdhsa_user_sgpr_kernarg_preload_length 0
		.amdhsa_user_sgpr_kernarg_preload_offset 0
		.amdhsa_user_sgpr_private_segment_size 0
		.amdhsa_wavefront_size32 1
		.amdhsa_uses_dynamic_stack 0
		.amdhsa_enable_private_segment 0
		.amdhsa_system_sgpr_workgroup_id_x 1
		.amdhsa_system_sgpr_workgroup_id_y 0
		.amdhsa_system_sgpr_workgroup_id_z 0
		.amdhsa_system_sgpr_workgroup_info 0
		.amdhsa_system_vgpr_workitem_id 0
		.amdhsa_next_free_vgpr 50
		.amdhsa_next_free_sgpr 20
		.amdhsa_named_barrier_count 0
		.amdhsa_reserve_vcc 1
		.amdhsa_float_round_mode_32 0
		.amdhsa_float_round_mode_16_64 0
		.amdhsa_float_denorm_mode_32 3
		.amdhsa_float_denorm_mode_16_64 3
		.amdhsa_fp16_overflow 0
		.amdhsa_memory_ordered 1
		.amdhsa_forward_progress 1
		.amdhsa_inst_pref_size 19
		.amdhsa_round_robin_scheduling 0
		.amdhsa_exception_fp_ieee_invalid_op 0
		.amdhsa_exception_fp_denorm_src 0
		.amdhsa_exception_fp_ieee_div_zero 0
		.amdhsa_exception_fp_ieee_overflow 0
		.amdhsa_exception_fp_ieee_underflow 0
		.amdhsa_exception_fp_ieee_inexact 0
		.amdhsa_exception_int_div_zero 0
	.end_amdhsa_kernel
	.section	.text._ZN2at6native12_GLOBAL__N_125multi_tensor_apply_kernelINS1_18TensorListMetadataILi3EEENS1_20TernaryOpListFunctorIN3c108BFloat16ELi3ELi3ELi0EEEJNS0_11LerpFunctorIfEEEEEvT_T0_DpT1_,"axG",@progbits,_ZN2at6native12_GLOBAL__N_125multi_tensor_apply_kernelINS1_18TensorListMetadataILi3EEENS1_20TernaryOpListFunctorIN3c108BFloat16ELi3ELi3ELi0EEEJNS0_11LerpFunctorIfEEEEEvT_T0_DpT1_,comdat
.Lfunc_end11:
	.size	_ZN2at6native12_GLOBAL__N_125multi_tensor_apply_kernelINS1_18TensorListMetadataILi3EEENS1_20TernaryOpListFunctorIN3c108BFloat16ELi3ELi3ELi0EEEJNS0_11LerpFunctorIfEEEEEvT_T0_DpT1_, .Lfunc_end11-_ZN2at6native12_GLOBAL__N_125multi_tensor_apply_kernelINS1_18TensorListMetadataILi3EEENS1_20TernaryOpListFunctorIN3c108BFloat16ELi3ELi3ELi0EEEJNS0_11LerpFunctorIfEEEEEvT_T0_DpT1_
                                        ; -- End function
	.set _ZN2at6native12_GLOBAL__N_125multi_tensor_apply_kernelINS1_18TensorListMetadataILi3EEENS1_20TernaryOpListFunctorIN3c108BFloat16ELi3ELi3ELi0EEEJNS0_11LerpFunctorIfEEEEEvT_T0_DpT1_.num_vgpr, 50
	.set _ZN2at6native12_GLOBAL__N_125multi_tensor_apply_kernelINS1_18TensorListMetadataILi3EEENS1_20TernaryOpListFunctorIN3c108BFloat16ELi3ELi3ELi0EEEJNS0_11LerpFunctorIfEEEEEvT_T0_DpT1_.num_agpr, 0
	.set _ZN2at6native12_GLOBAL__N_125multi_tensor_apply_kernelINS1_18TensorListMetadataILi3EEENS1_20TernaryOpListFunctorIN3c108BFloat16ELi3ELi3ELi0EEEJNS0_11LerpFunctorIfEEEEEvT_T0_DpT1_.numbered_sgpr, 20
	.set _ZN2at6native12_GLOBAL__N_125multi_tensor_apply_kernelINS1_18TensorListMetadataILi3EEENS1_20TernaryOpListFunctorIN3c108BFloat16ELi3ELi3ELi0EEEJNS0_11LerpFunctorIfEEEEEvT_T0_DpT1_.num_named_barrier, 0
	.set _ZN2at6native12_GLOBAL__N_125multi_tensor_apply_kernelINS1_18TensorListMetadataILi3EEENS1_20TernaryOpListFunctorIN3c108BFloat16ELi3ELi3ELi0EEEJNS0_11LerpFunctorIfEEEEEvT_T0_DpT1_.private_seg_size, 0
	.set _ZN2at6native12_GLOBAL__N_125multi_tensor_apply_kernelINS1_18TensorListMetadataILi3EEENS1_20TernaryOpListFunctorIN3c108BFloat16ELi3ELi3ELi0EEEJNS0_11LerpFunctorIfEEEEEvT_T0_DpT1_.uses_vcc, 1
	.set _ZN2at6native12_GLOBAL__N_125multi_tensor_apply_kernelINS1_18TensorListMetadataILi3EEENS1_20TernaryOpListFunctorIN3c108BFloat16ELi3ELi3ELi0EEEJNS0_11LerpFunctorIfEEEEEvT_T0_DpT1_.uses_flat_scratch, 0
	.set _ZN2at6native12_GLOBAL__N_125multi_tensor_apply_kernelINS1_18TensorListMetadataILi3EEENS1_20TernaryOpListFunctorIN3c108BFloat16ELi3ELi3ELi0EEEJNS0_11LerpFunctorIfEEEEEvT_T0_DpT1_.has_dyn_sized_stack, 0
	.set _ZN2at6native12_GLOBAL__N_125multi_tensor_apply_kernelINS1_18TensorListMetadataILi3EEENS1_20TernaryOpListFunctorIN3c108BFloat16ELi3ELi3ELi0EEEJNS0_11LerpFunctorIfEEEEEvT_T0_DpT1_.has_recursion, 0
	.set _ZN2at6native12_GLOBAL__N_125multi_tensor_apply_kernelINS1_18TensorListMetadataILi3EEENS1_20TernaryOpListFunctorIN3c108BFloat16ELi3ELi3ELi0EEEJNS0_11LerpFunctorIfEEEEEvT_T0_DpT1_.has_indirect_call, 0
	.section	.AMDGPU.csdata,"",@progbits
; Kernel info:
; codeLenInByte = 2432
; TotalNumSgprs: 22
; NumVgprs: 50
; ScratchSize: 0
; MemoryBound: 0
; FloatMode: 240
; IeeeMode: 1
; LDSByteSize: 0 bytes/workgroup (compile time only)
; SGPRBlocks: 0
; VGPRBlocks: 3
; NumSGPRsForWavesPerEU: 22
; NumVGPRsForWavesPerEU: 50
; NamedBarCnt: 0
; Occupancy: 16
; WaveLimiterHint : 0
; COMPUTE_PGM_RSRC2:SCRATCH_EN: 0
; COMPUTE_PGM_RSRC2:USER_SGPR: 2
; COMPUTE_PGM_RSRC2:TRAP_HANDLER: 0
; COMPUTE_PGM_RSRC2:TGID_X_EN: 1
; COMPUTE_PGM_RSRC2:TGID_Y_EN: 0
; COMPUTE_PGM_RSRC2:TGID_Z_EN: 0
; COMPUTE_PGM_RSRC2:TIDIG_COMP_CNT: 0
	.section	.text._ZN2at6native12_GLOBAL__N_125multi_tensor_apply_kernelINS1_18TensorListMetadataILi3EEENS1_22TernaryOpScalarFunctorIdLi3ELi2ELi2EEEJNS0_11LerpFunctorIdEEdEEEvT_T0_DpT1_,"axG",@progbits,_ZN2at6native12_GLOBAL__N_125multi_tensor_apply_kernelINS1_18TensorListMetadataILi3EEENS1_22TernaryOpScalarFunctorIdLi3ELi2ELi2EEEJNS0_11LerpFunctorIdEEdEEEvT_T0_DpT1_,comdat
	.globl	_ZN2at6native12_GLOBAL__N_125multi_tensor_apply_kernelINS1_18TensorListMetadataILi3EEENS1_22TernaryOpScalarFunctorIdLi3ELi2ELi2EEEJNS0_11LerpFunctorIdEEdEEEvT_T0_DpT1_ ; -- Begin function _ZN2at6native12_GLOBAL__N_125multi_tensor_apply_kernelINS1_18TensorListMetadataILi3EEENS1_22TernaryOpScalarFunctorIdLi3ELi2ELi2EEEJNS0_11LerpFunctorIdEEdEEEvT_T0_DpT1_
	.p2align	8
	.type	_ZN2at6native12_GLOBAL__N_125multi_tensor_apply_kernelINS1_18TensorListMetadataILi3EEENS1_22TernaryOpScalarFunctorIdLi3ELi2ELi2EEEJNS0_11LerpFunctorIdEEdEEEvT_T0_DpT1_,@function
_ZN2at6native12_GLOBAL__N_125multi_tensor_apply_kernelINS1_18TensorListMetadataILi3EEENS1_22TernaryOpScalarFunctorIdLi3ELi2ELi2EEEJNS0_11LerpFunctorIdEEdEEEvT_T0_DpT1_: ; @_ZN2at6native12_GLOBAL__N_125multi_tensor_apply_kernelINS1_18TensorListMetadataILi3EEENS1_22TernaryOpScalarFunctorIdLi3ELi2ELi2EEEJNS0_11LerpFunctorIdEEdEEEvT_T0_DpT1_
; %bb.0:
	s_bfe_u32 s2, ttmp6, 0x4000c
	s_and_b32 s3, ttmp6, 15
	s_add_co_i32 s2, s2, 1
	s_getreg_b32 s4, hwreg(HW_REG_IB_STS2, 6, 4)
	s_mul_i32 s2, ttmp9, s2
	s_mov_b32 s13, 0
	s_add_co_i32 s3, s3, s2
	s_cmp_eq_u32 s4, 0
	s_cselect_b32 s12, ttmp9, s3
	s_delay_alu instid0(SALU_CYCLE_1) | instskip(SKIP_1) | instid1(SALU_CYCLE_1)
	s_add_nc_u64 s[2:3], s[0:1], s[12:13]
	s_mul_u64 s[4:5], s[12:13], 3
	s_add_nc_u64 s[2:3], s[2:3], s[4:5]
	s_clause 0x1
	s_load_b32 s20, s[2:3], 0x740
	s_load_u8 s4, s[0:1], s12 offset:0x600
	s_wait_kmcnt 0x0
	s_clause 0x3
	s_load_b64 s[2:3], s[0:1], s4 offset:0x180 scale_offset
	s_load_b64 s[8:9], s[0:1], s4 offset:0x300 scale_offset
	s_load_b64 s[10:11], s[0:1], s4 offset:0x0 scale_offset
	s_load_b64 s[22:23], s[0:1], s4 offset:0x480 scale_offset
	s_ashr_i32 s21, s20, 31
	s_wait_xcnt 0x0
	s_lshl_b64 s[4:5], s[20:21], 19
	s_wait_kmcnt 0x0
	s_add_nc_u64 s[14:15], s[2:3], s[4:5]
	s_add_nc_u64 s[16:17], s[8:9], s[4:5]
	;; [unrolled: 1-line block ×3, first 2 shown]
	s_or_b32 s6, s16, s14
	s_and_b64 s[24:25], s[18:19], 31
	s_and_b32 s6, s6, 31
	s_delay_alu instid0(SALU_CYCLE_1)
	s_cmp_lg_u32 s6, 0
	s_load_b64 s[6:7], s[0:1], 0xc50
	s_cselect_b32 s26, -1, 0
	s_and_b32 s12, s22, 3
	s_lshl_b64 s[20:21], s[20:21], 16
	s_or_b64 s[12:13], s[24:25], s[12:13]
	s_delay_alu instid0(SALU_CYCLE_1) | instskip(SKIP_1) | instid1(SALU_CYCLE_1)
	s_cmp_lg_u64 s[12:13], 0
	s_cselect_b32 s12, -1, 0
	s_or_b32 s24, s26, s12
	s_sub_nc_u64 s[12:13], s[22:23], s[20:21]
	s_and_not1_b32 vcc_lo, exec_lo, s24
	s_mov_b32 s20, -1
	s_cbranch_vccz .LBB12_21
; %bb.1:
	v_min_i64 v[22:23], 0x10000, s[12:13]
	v_dual_mov_b32 v25, 0 :: v_dual_lshlrev_b32 v24, 2, v0
	s_mov_b32 s24, exec_lo
	s_delay_alu instid0(VALU_DEP_1)
	v_cmpx_lt_i64_e64 v[24:25], v[22:23]
	s_cbranch_execz .LBB12_20
; %bb.2:
	s_wait_kmcnt 0x0
	v_add_f64_e64 v[26:27], -s[6:7], 1.0
	v_cmp_nlt_f64_e64 s25, |s[6:7]|, 0.5
	s_load_b32 s20, s[0:1], 0xc64
	v_dual_mov_b32 v1, v25 :: v_dual_lshlrev_b32 v24, 5, v0
	s_mov_b32 s21, 0
	s_delay_alu instid0(SALU_CYCLE_1) | instskip(NEXT) | instid1(VALU_DEP_1)
	s_mov_b32 s23, s21
	v_mov_b64_e32 v[28:29], v[0:1]
	s_mov_b32 s26, s21
	s_wait_kmcnt 0x0
	s_and_b32 s20, s20, 0xffff
	s_delay_alu instid0(SALU_CYCLE_1)
	s_lshl_b32 s22, s20, 5
	s_branch .LBB12_4
.LBB12_3:                               ;   in Loop: Header=BB12_4 Depth=1
	v_add_nc_u64_e32 v[28:29], s[20:21], v[28:29]
	s_add_nc_u64 s[18:19], s[18:19], s[22:23]
	s_add_nc_u64 s[14:15], s[14:15], s[22:23]
	s_delay_alu instid0(VALU_DEP_1) | instskip(NEXT) | instid1(VALU_DEP_1)
	v_lshlrev_b64_e32 v[6:7], 2, v[28:29]
	v_cmp_ge_i64_e32 vcc_lo, v[6:7], v[22:23]
	v_add_nc_u64_e32 v[6:7], s[16:17], v[24:25]
	s_add_nc_u64 s[16:17], s[16:17], s[22:23]
	s_clause 0x1
	global_store_b128 v[6:7], v[2:5], off
	global_store_b128 v[6:7], v[14:17], off offset:16
	s_or_b32 s26, vcc_lo, s26
	s_wait_xcnt 0x0
	s_and_not1_b32 exec_lo, exec_lo, s26
	s_cbranch_execz .LBB12_20
.LBB12_4:                               ; =>This Inner Loop Header: Depth=1
	v_add_nc_u64_e32 v[2:3], s[14:15], v[24:25]
	v_add_nc_u64_e32 v[4:5], s[18:19], v[24:25]
	s_and_b32 vcc_lo, exec_lo, s25
	s_mov_b32 s27, -1
	global_load_b128 v[18:21], v[2:3], off
	s_clause 0x1
	global_load_b128 v[14:17], v[4:5], off
	global_load_b128 v[6:9], v[4:5], off offset:16
	global_load_b128 v[10:13], v[2:3], off offset:16
                                        ; implicit-def: $vgpr2_vgpr3
	s_wait_loadcnt 0x2
	s_wait_xcnt 0x1
	v_add_f64_e64 v[4:5], v[18:19], -v[14:15]
	s_cbranch_vccz .LBB12_8
; %bb.5:                                ;   in Loop: Header=BB12_4 Depth=1
	s_wait_xcnt 0x0
	s_delay_alu instid0(VALU_DEP_1)
	v_fma_f64 v[2:3], -v[26:27], v[4:5], v[18:19]
	s_cbranch_execz .LBB12_9
.LBB12_6:                               ;   in Loop: Header=BB12_4 Depth=1
	v_add_f64_e64 v[14:15], v[20:21], -v[16:17]
	s_and_not1_b32 vcc_lo, exec_lo, s25
	s_mov_b32 s27, -1
	s_cbranch_vccnz .LBB12_10
.LBB12_7:                               ;   in Loop: Header=BB12_4 Depth=1
	s_delay_alu instid0(VALU_DEP_1)
	v_fma_f64 v[4:5], -v[26:27], v[14:15], v[20:21]
	s_cbranch_execnz .LBB12_12
	s_branch .LBB12_11
.LBB12_8:                               ;   in Loop: Header=BB12_4 Depth=1
	s_and_not1_b32 vcc_lo, exec_lo, s27
	s_cbranch_vccnz .LBB12_6
.LBB12_9:                               ;   in Loop: Header=BB12_4 Depth=1
	s_delay_alu instid0(VALU_DEP_1) | instskip(SKIP_1) | instid1(VALU_DEP_1)
	v_fmac_f64_e32 v[14:15], s[6:7], v[4:5]
	s_wait_xcnt 0x0
	v_mov_b64_e32 v[2:3], v[14:15]
	v_add_f64_e64 v[14:15], v[20:21], -v[16:17]
	s_and_not1_b32 vcc_lo, exec_lo, s25
	s_mov_b32 s27, -1
	s_cbranch_vccz .LBB12_7
.LBB12_10:                              ;   in Loop: Header=BB12_4 Depth=1
	s_and_not1_b32 vcc_lo, exec_lo, s27
	s_cbranch_vccnz .LBB12_12
.LBB12_11:                              ;   in Loop: Header=BB12_4 Depth=1
	s_delay_alu instid0(VALU_DEP_1) | instskip(NEXT) | instid1(VALU_DEP_1)
	v_fmac_f64_e32 v[16:17], s[6:7], v[14:15]
	v_mov_b64_e32 v[4:5], v[16:17]
.LBB12_12:                              ;   in Loop: Header=BB12_4 Depth=1
	s_wait_loadcnt 0x0
	v_add_f64_e64 v[16:17], v[10:11], -v[6:7]
	s_and_not1_b32 vcc_lo, exec_lo, s25
	s_mov_b32 s27, -1
                                        ; implicit-def: $vgpr14_vgpr15
	s_cbranch_vccnz .LBB12_16
; %bb.13:                               ;   in Loop: Header=BB12_4 Depth=1
	s_delay_alu instid0(VALU_DEP_1)
	v_fma_f64 v[14:15], -v[26:27], v[16:17], v[10:11]
	s_cbranch_execz .LBB12_17
.LBB12_14:                              ;   in Loop: Header=BB12_4 Depth=1
	v_add_f64_e64 v[6:7], v[12:13], -v[8:9]
	s_and_not1_b32 vcc_lo, exec_lo, s25
	s_mov_b32 s27, -1
	s_cbranch_vccnz .LBB12_18
.LBB12_15:                              ;   in Loop: Header=BB12_4 Depth=1
	s_delay_alu instid0(VALU_DEP_1)
	v_fma_f64 v[16:17], -v[26:27], v[6:7], v[12:13]
	s_cbranch_execnz .LBB12_3
	s_branch .LBB12_19
.LBB12_16:                              ;   in Loop: Header=BB12_4 Depth=1
	s_and_not1_b32 vcc_lo, exec_lo, s27
	s_cbranch_vccnz .LBB12_14
.LBB12_17:                              ;   in Loop: Header=BB12_4 Depth=1
	s_delay_alu instid0(VALU_DEP_1) | instskip(NEXT) | instid1(VALU_DEP_1)
	v_fmac_f64_e32 v[6:7], s[6:7], v[16:17]
	v_mov_b64_e32 v[14:15], v[6:7]
	v_add_f64_e64 v[6:7], v[12:13], -v[8:9]
	s_and_not1_b32 vcc_lo, exec_lo, s25
	s_mov_b32 s27, -1
	s_cbranch_vccz .LBB12_15
.LBB12_18:                              ;   in Loop: Header=BB12_4 Depth=1
	s_and_not1_b32 vcc_lo, exec_lo, s27
	s_cbranch_vccnz .LBB12_3
.LBB12_19:                              ;   in Loop: Header=BB12_4 Depth=1
	s_delay_alu instid0(VALU_DEP_1) | instskip(NEXT) | instid1(VALU_DEP_1)
	v_fmac_f64_e32 v[8:9], s[6:7], v[6:7]
	v_mov_b64_e32 v[16:17], v[8:9]
	s_branch .LBB12_3
.LBB12_20:
	s_or_b32 exec_lo, exec_lo, s24
	s_mov_b32 s20, 0
.LBB12_21:
	s_delay_alu instid0(SALU_CYCLE_1)
	s_and_not1_b32 vcc_lo, exec_lo, s20
	s_cbranch_vccnz .LBB12_57
; %bb.22:
	v_cmp_lt_i64_e64 s14, s[12:13], 1
	s_and_b32 vcc_lo, exec_lo, s14
	s_cbranch_vccnz .LBB12_57
; %bb.23:
	s_wait_xcnt 0x0
	s_load_b32 s0, s[0:1], 0xc64
	v_min_i64 v[2:3], 0x10000, s[12:13]
	v_min_u64 v[4:5], 0x10000, s[12:13]
	s_wait_kmcnt 0x0
	v_cmp_nlt_f64_e64 s14, |s[6:7]|, 0.5
	v_add_f64_e64 v[6:7], -s[6:7], 1.0
	v_dual_mov_b32 v1, 0 :: v_dual_lshlrev_b32 v14, 3, v0
	s_mov_b32 s1, 0
	s_delay_alu instid0(SALU_CYCLE_1) | instskip(NEXT) | instid1(VALU_DEP_1)
	s_mov_b32 s19, s1
	v_dual_mov_b32 v15, v1 :: v_dual_mov_b32 v37, v1
	s_mov_b32 s13, s1
	s_mov_b32 s17, s1
	s_delay_alu instid0(VALU_DEP_1) | instskip(SKIP_2) | instid1(SALU_CYCLE_1)
	v_add_nc_u64_e32 v[8:9], s[10:11], v[14:15]
	v_add_nc_u64_e32 v[10:11], s[2:3], v[14:15]
	s_and_b32 s0, s0, 0xffff
	v_add_nc_u64_e32 v[12:13], s[0:1], v[0:1]
	v_mad_nc_u64_u32 v[30:31], s0, 24, v[14:15]
	s_lshl_b32 s18, s0, 4
	s_mul_i32 s16, s0, 3
	v_add_nc_u64_e32 v[24:25], s[18:19], v[14:15]
	s_lshl_b32 s12, s0, 1
	v_add_nc_u64_e32 v[14:15], s[8:9], v[14:15]
	v_lshlrev_b32_e32 v36, 3, v12
	v_add_nc_u64_e32 v[16:17], s[16:17], v[0:1]
	v_add_nc_u64_e32 v[18:19], s[12:13], v[0:1]
	s_mov_b64 s[12:13], 0
	v_add_nc_u64_e32 v[20:21], s[10:11], v[24:25]
	v_add_nc_u64_e32 v[22:23], s[2:3], v[24:25]
	;; [unrolled: 1-line block ×9, first 2 shown]
	s_lshl_b32 s8, s0, 2
	s_mov_b32 s9, s1
	s_lshl_b32 s10, s0, 5
	s_mov_b32 s11, s1
	s_branch .LBB12_25
.LBB12_24:                              ;   in Loop: Header=BB12_25 Depth=1
	s_wait_xcnt 0x0
	s_or_b32 exec_lo, exec_lo, s0
	s_add_nc_u64 s[12:13], s[12:13], s[8:9]
	v_add_nc_u64_e32 v[8:9], s[10:11], v[8:9]
	v_cmp_ge_i64_e32 vcc_lo, s[12:13], v[2:3]
	v_add_nc_u64_e32 v[10:11], s[10:11], v[10:11]
	v_add_nc_u64_e32 v[14:15], s[10:11], v[14:15]
	;; [unrolled: 1-line block ×11, first 2 shown]
	s_cbranch_vccnz .LBB12_57
.LBB12_25:                              ; =>This Inner Loop Header: Depth=1
	v_add_nc_u64_e32 v[38:39], s[12:13], v[0:1]
	v_mov_b64_e32 v[42:43], 0
	v_mov_b64_e32 v[54:55], 0
	;; [unrolled: 1-line block ×3, first 2 shown]
	s_delay_alu instid0(VALU_DEP_4)
	v_cmp_lt_u64_e64 s0, v[38:39], v[4:5]
	s_and_saveexec_b32 s1, s0
	s_cbranch_execz .LBB12_27
; %bb.26:                               ;   in Loop: Header=BB12_25 Depth=1
	v_add_nc_u64_e32 v[38:39], s[4:5], v[8:9]
	v_add_nc_u64_e32 v[40:41], s[4:5], v[10:11]
	global_load_b64 v[50:51], v[38:39], off
	global_load_b64 v[54:55], v[40:41], off
.LBB12_27:                              ;   in Loop: Header=BB12_25 Depth=1
	s_wait_xcnt 0x0
	s_or_b32 exec_lo, exec_lo, s1
	v_add_nc_u64_e32 v[38:39], s[12:13], v[12:13]
	v_mov_b64_e32 v[46:47], 0
	s_delay_alu instid0(VALU_DEP_2)
	v_cmp_lt_u64_e64 s1, v[38:39], v[4:5]
	s_and_saveexec_b32 s2, s1
	s_cbranch_execz .LBB12_29
; %bb.28:                               ;   in Loop: Header=BB12_25 Depth=1
	v_add_nc_u64_e32 v[38:39], s[4:5], v[32:33]
	v_add_nc_u64_e32 v[40:41], s[4:5], v[34:35]
	global_load_b64 v[46:47], v[38:39], off
	global_load_b64 v[42:43], v[40:41], off
.LBB12_29:                              ;   in Loop: Header=BB12_25 Depth=1
	s_wait_xcnt 0x0
	s_or_b32 exec_lo, exec_lo, s2
	v_add_nc_u64_e32 v[40:41], s[12:13], v[18:19]
	v_mov_b64_e32 v[38:39], 0
	v_mov_b64_e32 v[52:53], 0
	v_mov_b64_e32 v[44:45], 0
	s_delay_alu instid0(VALU_DEP_4)
	v_cmp_lt_u64_e64 s2, v[40:41], v[4:5]
	s_and_saveexec_b32 s3, s2
	s_cbranch_execz .LBB12_31
; %bb.30:                               ;   in Loop: Header=BB12_25 Depth=1
	v_add_nc_u64_e32 v[40:41], s[4:5], v[20:21]
	v_add_nc_u64_e32 v[48:49], s[4:5], v[22:23]
	global_load_b64 v[44:45], v[40:41], off
	global_load_b64 v[52:53], v[48:49], off
.LBB12_31:                              ;   in Loop: Header=BB12_25 Depth=1
	s_wait_xcnt 0x0
	s_or_b32 exec_lo, exec_lo, s3
	v_add_nc_u64_e32 v[40:41], s[12:13], v[16:17]
	s_delay_alu instid0(VALU_DEP_1)
	v_cmp_lt_u64_e64 s3, v[40:41], v[4:5]
	v_mov_b64_e32 v[40:41], 0
	s_and_saveexec_b32 s15, s3
	s_cbranch_execz .LBB12_33
; %bb.32:                               ;   in Loop: Header=BB12_25 Depth=1
	v_add_nc_u64_e32 v[48:49], s[4:5], v[26:27]
	v_add_nc_u64_e32 v[56:57], s[4:5], v[28:29]
	global_load_b64 v[40:41], v[48:49], off
	global_load_b64 v[38:39], v[56:57], off
.LBB12_33:                              ;   in Loop: Header=BB12_25 Depth=1
	s_wait_xcnt 0x0
	s_or_b32 exec_lo, exec_lo, s15
	s_wait_loadcnt 0x0
	v_add_f64_e64 v[56:57], v[54:55], -v[50:51]
	s_and_b32 vcc_lo, exec_lo, s14
	s_mov_b32 s15, -1
                                        ; implicit-def: $vgpr48_vgpr49
	s_cbranch_vccz .LBB12_35
; %bb.34:                               ;   in Loop: Header=BB12_25 Depth=1
	s_delay_alu instid0(VALU_DEP_1)
	v_fma_f64 v[48:49], -v[6:7], v[56:57], v[54:55]
	s_cbranch_execnz .LBB12_37
	s_branch .LBB12_36
.LBB12_35:                              ;   in Loop: Header=BB12_25 Depth=1
	s_and_not1_b32 vcc_lo, exec_lo, s15
	s_cbranch_vccnz .LBB12_37
.LBB12_36:                              ;   in Loop: Header=BB12_25 Depth=1
	s_delay_alu instid0(VALU_DEP_1) | instskip(NEXT) | instid1(VALU_DEP_1)
	v_fmac_f64_e32 v[50:51], s[6:7], v[56:57]
	v_mov_b64_e32 v[48:49], v[50:51]
.LBB12_37:                              ;   in Loop: Header=BB12_25 Depth=1
	v_add_f64_e64 v[54:55], v[42:43], -v[46:47]
	s_and_not1_b32 vcc_lo, exec_lo, s14
	s_mov_b32 s15, -1
                                        ; implicit-def: $vgpr50_vgpr51
	s_cbranch_vccnz .LBB12_39
; %bb.38:                               ;   in Loop: Header=BB12_25 Depth=1
	s_delay_alu instid0(VALU_DEP_1)
	v_fma_f64 v[50:51], -v[6:7], v[54:55], v[42:43]
	s_cbranch_execnz .LBB12_41
	s_branch .LBB12_40
.LBB12_39:                              ;   in Loop: Header=BB12_25 Depth=1
	s_and_not1_b32 vcc_lo, exec_lo, s15
	s_cbranch_vccnz .LBB12_41
.LBB12_40:                              ;   in Loop: Header=BB12_25 Depth=1
	s_delay_alu instid0(VALU_DEP_1) | instskip(NEXT) | instid1(VALU_DEP_1)
	v_fmac_f64_e32 v[46:47], s[6:7], v[54:55]
	v_mov_b64_e32 v[50:51], v[46:47]
.LBB12_41:                              ;   in Loop: Header=BB12_25 Depth=1
	v_add_f64_e64 v[46:47], v[52:53], -v[44:45]
	s_and_not1_b32 vcc_lo, exec_lo, s14
	s_mov_b32 s15, -1
                                        ; implicit-def: $vgpr42_vgpr43
	s_cbranch_vccnz .LBB12_43
; %bb.42:                               ;   in Loop: Header=BB12_25 Depth=1
	s_delay_alu instid0(VALU_DEP_1)
	v_fma_f64 v[42:43], -v[6:7], v[46:47], v[52:53]
	s_cbranch_execnz .LBB12_45
	s_branch .LBB12_44
.LBB12_43:                              ;   in Loop: Header=BB12_25 Depth=1
	s_and_not1_b32 vcc_lo, exec_lo, s15
	s_cbranch_vccnz .LBB12_45
.LBB12_44:                              ;   in Loop: Header=BB12_25 Depth=1
	s_delay_alu instid0(VALU_DEP_1) | instskip(NEXT) | instid1(VALU_DEP_1)
	v_fmac_f64_e32 v[44:45], s[6:7], v[46:47]
	v_mov_b64_e32 v[42:43], v[44:45]
.LBB12_45:                              ;   in Loop: Header=BB12_25 Depth=1
	v_add_f64_e64 v[46:47], v[38:39], -v[40:41]
	s_and_not1_b32 vcc_lo, exec_lo, s14
	s_mov_b32 s15, -1
                                        ; implicit-def: $vgpr44_vgpr45
	s_cbranch_vccnz .LBB12_51
; %bb.46:                               ;   in Loop: Header=BB12_25 Depth=1
	s_delay_alu instid0(VALU_DEP_1)
	v_fma_f64 v[44:45], -v[6:7], v[46:47], v[38:39]
	s_cbranch_execz .LBB12_52
.LBB12_47:                              ;   in Loop: Header=BB12_25 Depth=1
	s_and_saveexec_b32 s15, s0
	s_delay_alu instid0(SALU_CYCLE_1)
	s_xor_b32 s0, exec_lo, s15
	s_cbranch_execz .LBB12_53
.LBB12_48:                              ;   in Loop: Header=BB12_25 Depth=1
	v_add_nc_u64_e32 v[38:39], s[4:5], v[14:15]
	global_store_b64 v[38:39], v[48:49], off
	s_wait_xcnt 0x0
	s_or_b32 exec_lo, exec_lo, s0
	s_and_saveexec_b32 s0, s1
	s_cbranch_execnz .LBB12_54
.LBB12_49:                              ;   in Loop: Header=BB12_25 Depth=1
	s_or_b32 exec_lo, exec_lo, s0
	s_and_saveexec_b32 s0, s2
	s_cbranch_execz .LBB12_55
.LBB12_50:                              ;   in Loop: Header=BB12_25 Depth=1
	v_add_nc_u64_e32 v[38:39], s[4:5], v[24:25]
	global_store_b64 v[38:39], v[42:43], off
	s_wait_xcnt 0x0
	s_or_b32 exec_lo, exec_lo, s0
	s_and_saveexec_b32 s0, s3
	s_cbranch_execz .LBB12_24
	s_branch .LBB12_56
.LBB12_51:                              ;   in Loop: Header=BB12_25 Depth=1
	s_and_not1_b32 vcc_lo, exec_lo, s15
	s_cbranch_vccnz .LBB12_47
.LBB12_52:                              ;   in Loop: Header=BB12_25 Depth=1
	s_delay_alu instid0(VALU_DEP_1) | instskip(NEXT) | instid1(VALU_DEP_1)
	v_fmac_f64_e32 v[40:41], s[6:7], v[46:47]
	v_mov_b64_e32 v[44:45], v[40:41]
	s_and_saveexec_b32 s15, s0
	s_delay_alu instid0(SALU_CYCLE_1)
	s_xor_b32 s0, exec_lo, s15
	s_cbranch_execnz .LBB12_48
.LBB12_53:                              ;   in Loop: Header=BB12_25 Depth=1
	s_or_b32 exec_lo, exec_lo, s0
	s_and_saveexec_b32 s0, s1
	s_cbranch_execz .LBB12_49
.LBB12_54:                              ;   in Loop: Header=BB12_25 Depth=1
	v_add_nc_u64_e32 v[38:39], s[4:5], v[36:37]
	global_store_b64 v[38:39], v[50:51], off
	s_wait_xcnt 0x0
	s_or_b32 exec_lo, exec_lo, s0
	s_and_saveexec_b32 s0, s2
	s_cbranch_execnz .LBB12_50
.LBB12_55:                              ;   in Loop: Header=BB12_25 Depth=1
	s_or_b32 exec_lo, exec_lo, s0
	s_and_saveexec_b32 s0, s3
	s_cbranch_execz .LBB12_24
.LBB12_56:                              ;   in Loop: Header=BB12_25 Depth=1
	v_add_nc_u64_e32 v[38:39], s[4:5], v[30:31]
	global_store_b64 v[38:39], v[44:45], off
	s_branch .LBB12_24
.LBB12_57:
	s_endpgm
	.section	.rodata,"a",@progbits
	.p2align	6, 0x0
	.amdhsa_kernel _ZN2at6native12_GLOBAL__N_125multi_tensor_apply_kernelINS1_18TensorListMetadataILi3EEENS1_22TernaryOpScalarFunctorIdLi3ELi2ELi2EEEJNS0_11LerpFunctorIdEEdEEEvT_T0_DpT1_
		.amdhsa_group_segment_fixed_size 0
		.amdhsa_private_segment_fixed_size 0
		.amdhsa_kernarg_size 3416
		.amdhsa_user_sgpr_count 2
		.amdhsa_user_sgpr_dispatch_ptr 0
		.amdhsa_user_sgpr_queue_ptr 0
		.amdhsa_user_sgpr_kernarg_segment_ptr 1
		.amdhsa_user_sgpr_dispatch_id 0
		.amdhsa_user_sgpr_kernarg_preload_length 0
		.amdhsa_user_sgpr_kernarg_preload_offset 0
		.amdhsa_user_sgpr_private_segment_size 0
		.amdhsa_wavefront_size32 1
		.amdhsa_uses_dynamic_stack 0
		.amdhsa_enable_private_segment 0
		.amdhsa_system_sgpr_workgroup_id_x 1
		.amdhsa_system_sgpr_workgroup_id_y 0
		.amdhsa_system_sgpr_workgroup_id_z 0
		.amdhsa_system_sgpr_workgroup_info 0
		.amdhsa_system_vgpr_workitem_id 0
		.amdhsa_next_free_vgpr 58
		.amdhsa_next_free_sgpr 28
		.amdhsa_named_barrier_count 0
		.amdhsa_reserve_vcc 1
		.amdhsa_float_round_mode_32 0
		.amdhsa_float_round_mode_16_64 0
		.amdhsa_float_denorm_mode_32 3
		.amdhsa_float_denorm_mode_16_64 3
		.amdhsa_fp16_overflow 0
		.amdhsa_memory_ordered 1
		.amdhsa_forward_progress 1
		.amdhsa_inst_pref_size 15
		.amdhsa_round_robin_scheduling 0
		.amdhsa_exception_fp_ieee_invalid_op 0
		.amdhsa_exception_fp_denorm_src 0
		.amdhsa_exception_fp_ieee_div_zero 0
		.amdhsa_exception_fp_ieee_overflow 0
		.amdhsa_exception_fp_ieee_underflow 0
		.amdhsa_exception_fp_ieee_inexact 0
		.amdhsa_exception_int_div_zero 0
	.end_amdhsa_kernel
	.section	.text._ZN2at6native12_GLOBAL__N_125multi_tensor_apply_kernelINS1_18TensorListMetadataILi3EEENS1_22TernaryOpScalarFunctorIdLi3ELi2ELi2EEEJNS0_11LerpFunctorIdEEdEEEvT_T0_DpT1_,"axG",@progbits,_ZN2at6native12_GLOBAL__N_125multi_tensor_apply_kernelINS1_18TensorListMetadataILi3EEENS1_22TernaryOpScalarFunctorIdLi3ELi2ELi2EEEJNS0_11LerpFunctorIdEEdEEEvT_T0_DpT1_,comdat
.Lfunc_end12:
	.size	_ZN2at6native12_GLOBAL__N_125multi_tensor_apply_kernelINS1_18TensorListMetadataILi3EEENS1_22TernaryOpScalarFunctorIdLi3ELi2ELi2EEEJNS0_11LerpFunctorIdEEdEEEvT_T0_DpT1_, .Lfunc_end12-_ZN2at6native12_GLOBAL__N_125multi_tensor_apply_kernelINS1_18TensorListMetadataILi3EEENS1_22TernaryOpScalarFunctorIdLi3ELi2ELi2EEEJNS0_11LerpFunctorIdEEdEEEvT_T0_DpT1_
                                        ; -- End function
	.set _ZN2at6native12_GLOBAL__N_125multi_tensor_apply_kernelINS1_18TensorListMetadataILi3EEENS1_22TernaryOpScalarFunctorIdLi3ELi2ELi2EEEJNS0_11LerpFunctorIdEEdEEEvT_T0_DpT1_.num_vgpr, 58
	.set _ZN2at6native12_GLOBAL__N_125multi_tensor_apply_kernelINS1_18TensorListMetadataILi3EEENS1_22TernaryOpScalarFunctorIdLi3ELi2ELi2EEEJNS0_11LerpFunctorIdEEdEEEvT_T0_DpT1_.num_agpr, 0
	.set _ZN2at6native12_GLOBAL__N_125multi_tensor_apply_kernelINS1_18TensorListMetadataILi3EEENS1_22TernaryOpScalarFunctorIdLi3ELi2ELi2EEEJNS0_11LerpFunctorIdEEdEEEvT_T0_DpT1_.numbered_sgpr, 28
	.set _ZN2at6native12_GLOBAL__N_125multi_tensor_apply_kernelINS1_18TensorListMetadataILi3EEENS1_22TernaryOpScalarFunctorIdLi3ELi2ELi2EEEJNS0_11LerpFunctorIdEEdEEEvT_T0_DpT1_.num_named_barrier, 0
	.set _ZN2at6native12_GLOBAL__N_125multi_tensor_apply_kernelINS1_18TensorListMetadataILi3EEENS1_22TernaryOpScalarFunctorIdLi3ELi2ELi2EEEJNS0_11LerpFunctorIdEEdEEEvT_T0_DpT1_.private_seg_size, 0
	.set _ZN2at6native12_GLOBAL__N_125multi_tensor_apply_kernelINS1_18TensorListMetadataILi3EEENS1_22TernaryOpScalarFunctorIdLi3ELi2ELi2EEEJNS0_11LerpFunctorIdEEdEEEvT_T0_DpT1_.uses_vcc, 1
	.set _ZN2at6native12_GLOBAL__N_125multi_tensor_apply_kernelINS1_18TensorListMetadataILi3EEENS1_22TernaryOpScalarFunctorIdLi3ELi2ELi2EEEJNS0_11LerpFunctorIdEEdEEEvT_T0_DpT1_.uses_flat_scratch, 0
	.set _ZN2at6native12_GLOBAL__N_125multi_tensor_apply_kernelINS1_18TensorListMetadataILi3EEENS1_22TernaryOpScalarFunctorIdLi3ELi2ELi2EEEJNS0_11LerpFunctorIdEEdEEEvT_T0_DpT1_.has_dyn_sized_stack, 0
	.set _ZN2at6native12_GLOBAL__N_125multi_tensor_apply_kernelINS1_18TensorListMetadataILi3EEENS1_22TernaryOpScalarFunctorIdLi3ELi2ELi2EEEJNS0_11LerpFunctorIdEEdEEEvT_T0_DpT1_.has_recursion, 0
	.set _ZN2at6native12_GLOBAL__N_125multi_tensor_apply_kernelINS1_18TensorListMetadataILi3EEENS1_22TernaryOpScalarFunctorIdLi3ELi2ELi2EEEJNS0_11LerpFunctorIdEEdEEEvT_T0_DpT1_.has_indirect_call, 0
	.section	.AMDGPU.csdata,"",@progbits
; Kernel info:
; codeLenInByte = 1816
; TotalNumSgprs: 30
; NumVgprs: 58
; ScratchSize: 0
; MemoryBound: 1
; FloatMode: 240
; IeeeMode: 1
; LDSByteSize: 0 bytes/workgroup (compile time only)
; SGPRBlocks: 0
; VGPRBlocks: 3
; NumSGPRsForWavesPerEU: 30
; NumVGPRsForWavesPerEU: 58
; NamedBarCnt: 0
; Occupancy: 16
; WaveLimiterHint : 0
; COMPUTE_PGM_RSRC2:SCRATCH_EN: 0
; COMPUTE_PGM_RSRC2:USER_SGPR: 2
; COMPUTE_PGM_RSRC2:TRAP_HANDLER: 0
; COMPUTE_PGM_RSRC2:TGID_X_EN: 1
; COMPUTE_PGM_RSRC2:TGID_Y_EN: 0
; COMPUTE_PGM_RSRC2:TGID_Z_EN: 0
; COMPUTE_PGM_RSRC2:TIDIG_COMP_CNT: 0
	.section	.text._ZN2at6native12_GLOBAL__N_125multi_tensor_apply_kernelINS1_18TensorListMetadataILi3EEENS1_22TernaryOpScalarFunctorIfLi3ELi2ELi2EEEJNS0_11LerpFunctorIfEEfEEEvT_T0_DpT1_,"axG",@progbits,_ZN2at6native12_GLOBAL__N_125multi_tensor_apply_kernelINS1_18TensorListMetadataILi3EEENS1_22TernaryOpScalarFunctorIfLi3ELi2ELi2EEEJNS0_11LerpFunctorIfEEfEEEvT_T0_DpT1_,comdat
	.globl	_ZN2at6native12_GLOBAL__N_125multi_tensor_apply_kernelINS1_18TensorListMetadataILi3EEENS1_22TernaryOpScalarFunctorIfLi3ELi2ELi2EEEJNS0_11LerpFunctorIfEEfEEEvT_T0_DpT1_ ; -- Begin function _ZN2at6native12_GLOBAL__N_125multi_tensor_apply_kernelINS1_18TensorListMetadataILi3EEENS1_22TernaryOpScalarFunctorIfLi3ELi2ELi2EEEJNS0_11LerpFunctorIfEEfEEEvT_T0_DpT1_
	.p2align	8
	.type	_ZN2at6native12_GLOBAL__N_125multi_tensor_apply_kernelINS1_18TensorListMetadataILi3EEENS1_22TernaryOpScalarFunctorIfLi3ELi2ELi2EEEJNS0_11LerpFunctorIfEEfEEEvT_T0_DpT1_,@function
_ZN2at6native12_GLOBAL__N_125multi_tensor_apply_kernelINS1_18TensorListMetadataILi3EEENS1_22TernaryOpScalarFunctorIfLi3ELi2ELi2EEEJNS0_11LerpFunctorIfEEfEEEvT_T0_DpT1_: ; @_ZN2at6native12_GLOBAL__N_125multi_tensor_apply_kernelINS1_18TensorListMetadataILi3EEENS1_22TernaryOpScalarFunctorIfLi3ELi2ELi2EEEJNS0_11LerpFunctorIfEEfEEEvT_T0_DpT1_
; %bb.0:
	s_bfe_u32 s2, ttmp6, 0x4000c
	s_and_b32 s3, ttmp6, 15
	s_add_co_i32 s2, s2, 1
	s_getreg_b32 s4, hwreg(HW_REG_IB_STS2, 6, 4)
	s_mul_i32 s2, ttmp9, s2
	s_delay_alu instid0(SALU_CYCLE_1) | instskip(SKIP_3) | instid1(SALU_CYCLE_1)
	s_add_co_i32 s2, s3, s2
	s_cmp_eq_u32 s4, 0
	s_mov_b32 s3, 0
	s_cselect_b32 s2, ttmp9, s2
	s_add_nc_u64 s[4:5], s[0:1], s[2:3]
	s_mul_u64 s[6:7], s[2:3], 3
	s_delay_alu instid0(SALU_CYCLE_1)
	s_add_nc_u64 s[4:5], s[4:5], s[6:7]
	s_clause 0x1
	s_load_b32 s14, s[4:5], 0x740
	s_load_u8 s6, s[0:1], s2 offset:0x600
	s_wait_kmcnt 0x0
	s_clause 0x3
	s_load_b64 s[8:9], s[0:1], s6 offset:0x180 scale_offset
	s_load_b64 s[10:11], s[0:1], s6 offset:0x300 scale_offset
	;; [unrolled: 1-line block ×4, first 2 shown]
	s_ashr_i32 s15, s14, 31
	s_delay_alu instid0(SALU_CYCLE_1) | instskip(SKIP_2) | instid1(SALU_CYCLE_1)
	s_lshl_b64 s[4:5], s[14:15], 18
	s_wait_kmcnt 0x0
	s_add_nc_u64 s[6:7], s[8:9], s[4:5]
	s_or_b32 s2, s10, s6
	s_load_b32 s6, s[0:1], 0xc4c
	s_and_b32 s2, s2, 15
	s_and_b64 s[18:19], s[12:13], 15
	s_cmp_lg_u32 s2, 0
	s_cselect_b32 s7, -1, 0
	s_and_b32 s2, s16, 3
	s_lshl_b64 s[14:15], s[14:15], 16
	s_or_b64 s[2:3], s[18:19], s[2:3]
	s_sub_nc_u64 s[14:15], s[16:17], s[14:15]
	s_cmp_lg_u64 s[2:3], 0
	s_cselect_b32 s2, -1, 0
	s_delay_alu instid0(SALU_CYCLE_1) | instskip(NEXT) | instid1(SALU_CYCLE_1)
	s_or_b32 s2, s7, s2
	s_and_not1_b32 vcc_lo, exec_lo, s2
	s_mov_b32 s2, -1
	s_cbranch_vccz .LBB13_5
; %bb.1:
	v_min_i64 v[2:3], 0x10000, s[14:15]
	v_dual_mov_b32 v7, 0 :: v_dual_lshlrev_b32 v6, 2, v0
	s_mov_b32 s3, exec_lo
	s_delay_alu instid0(VALU_DEP_1)
	v_cmpx_lt_i64_e64 v[6:7], v[2:3]
	s_cbranch_execz .LBB13_4
; %bb.2:
	s_load_b32 s2, s[0:1], 0xc5c
	s_wait_kmcnt 0x0
	s_sub_f32 s22, 1.0, s6
	v_dual_mov_b32 v1, v7 :: v_dual_lshlrev_b32 v6, 4, v0
	s_and_b32 s16, s6, 0x7fffffff
	s_mov_b32 s7, s6
	s_mov_b32 s23, s22
	s_cmp_lt_f32 s16, 0.5
	v_mov_b64_e32 v[4:5], s[6:7]
	v_add_nc_u64_e32 v[6:7], s[4:5], v[6:7]
	v_mov_b64_e32 v[8:9], v[0:1]
	v_mov_b64_e32 v[10:11], s[22:23]
	s_mov_b32 s17, 0
	s_cselect_b32 vcc_lo, -1, 0
	s_add_nc_u64 s[18:19], s[12:13], 8
	s_add_nc_u64 s[20:21], s[8:9], 8
	s_mov_b32 s23, s17
	s_mov_b32 s7, s17
	s_and_b32 s16, s2, 0xffff
	s_delay_alu instid0(SALU_CYCLE_1)
	s_lshl_b32 s22, s16, 4
.LBB13_3:                               ; =>This Inner Loop Header: Depth=1
	v_add_nc_u64_e32 v[20:21], s[18:19], v[6:7]
	v_add_nc_u64_e32 v[22:23], s[20:21], v[6:7]
	;; [unrolled: 1-line block ×3, first 2 shown]
	global_load_b128 v[12:15], v[20:21], off offset:-8
	global_load_b128 v[16:19], v[22:23], off offset:-8
	s_wait_xcnt 0x1
	v_add_nc_u64_e32 v[20:21], s[10:11], v[6:7]
	s_wait_xcnt 0x0
	v_lshlrev_b64_e32 v[22:23], 2, v[8:9]
	v_add_nc_u64_e32 v[6:7], s[22:23], v[6:7]
	s_delay_alu instid0(VALU_DEP_2) | instskip(SKIP_4) | instid1(VALU_DEP_2)
	v_cmp_ge_i64_e64 s2, v[22:23], v[2:3]
	s_or_b32 s7, s2, s7
	s_wait_loadcnt 0x0
	v_pk_add_f32 v[24:25], v[16:17], v[12:13] neg_lo:[0,1] neg_hi:[0,1]
	v_pk_add_f32 v[26:27], v[18:19], v[14:15] neg_lo:[0,1] neg_hi:[0,1]
	v_pk_fma_f32 v[12:13], v[4:5], v[24:25], v[12:13]
	v_pk_fma_f32 v[16:17], v[10:11], v[24:25], v[16:17] neg_lo:[1,0,0] neg_hi:[1,0,0]
	s_delay_alu instid0(VALU_DEP_3) | instskip(SKIP_1) | instid1(VALU_DEP_3)
	v_pk_fma_f32 v[14:15], v[4:5], v[26:27], v[14:15]
	v_pk_fma_f32 v[18:19], v[10:11], v[26:27], v[18:19] neg_lo:[1,0,0] neg_hi:[1,0,0]
	v_dual_cndmask_b32 v13, v17, v13 :: v_dual_cndmask_b32 v12, v16, v12
	s_delay_alu instid0(VALU_DEP_2)
	v_dual_cndmask_b32 v15, v19, v15 :: v_dual_cndmask_b32 v14, v18, v14
	global_store_b128 v[20:21], v[12:15], off
	s_wait_xcnt 0x0
	s_and_not1_b32 exec_lo, exec_lo, s7
	s_cbranch_execnz .LBB13_3
.LBB13_4:
	s_or_b32 exec_lo, exec_lo, s3
	s_mov_b32 s2, 0
.LBB13_5:
	s_delay_alu instid0(SALU_CYCLE_1)
	s_and_not1_b32 vcc_lo, exec_lo, s2
	s_cbranch_vccnz .LBB13_25
; %bb.6:
	v_cmp_lt_i64_e64 s2, s[14:15], 1
	s_and_b32 vcc_lo, exec_lo, s2
	s_cbranch_vccnz .LBB13_25
; %bb.7:
	s_wait_xcnt 0x0
	s_load_b32 s0, s[0:1], 0xc5c
	v_min_i64 v[2:3], 0x10000, s[14:15]
	v_min_u64 v[4:5], 0x10000, s[14:15]
	v_dual_mov_b32 v1, 0 :: v_dual_lshlrev_b32 v16, 2, v0
	s_wait_kmcnt 0x0
	s_and_b32 s1, s6, 0x7fffffff
	s_mov_b32 s3, 0
	s_sub_f32 s7, 1.0, s6
	v_dual_mov_b32 v17, v1 :: v_dual_mov_b32 v35, v1
	s_mov_b32 s19, s3
	s_mov_b32 s15, s3
	;; [unrolled: 1-line block ×3, first 2 shown]
	s_delay_alu instid0(VALU_DEP_1) | instskip(SKIP_3) | instid1(SALU_CYCLE_1)
	v_add_nc_u64_e32 v[6:7], s[12:13], v[16:17]
	v_add_nc_u64_e32 v[8:9], s[8:9], v[16:17]
	;; [unrolled: 1-line block ×3, first 2 shown]
	s_and_b32 s2, s0, 0xffff
	s_lshl_b32 s14, s2, 1
	s_cmp_lt_f32 s1, 0.5
	v_add_nc_u64_e32 v[10:11], s[2:3], v[0:1]
	v_mad_nc_u64_u32 v[22:23], s2, 12, v[16:17]
	s_mul_i32 s16, s2, 3
	s_cselect_b32 s0, -1, 0
	s_lshl_b32 s18, s2, 3
	v_add_nc_u64_e32 v[14:15], s[16:17], v[0:1]
	v_add_nc_u64_e32 v[32:33], s[18:19], v[16:17]
	v_lshlrev_b32_e32 v34, 2, v10
	v_add_nc_u64_e32 v[16:17], s[14:15], v[0:1]
	v_add_nc_u64_e32 v[18:19], s[12:13], v[22:23]
	;; [unrolled: 1-line block ×10, first 2 shown]
	s_lshl_b32 s8, s2, 2
	s_mov_b32 s9, s3
	s_lshl_b32 s10, s2, 4
	s_mov_b32 s11, s3
	s_mov_b64 s[12:13], 0
	s_branch .LBB13_9
.LBB13_8:                               ;   in Loop: Header=BB13_9 Depth=1
	s_wait_xcnt 0x0
	s_or_b32 exec_lo, exec_lo, s1
	s_add_nc_u64 s[12:13], s[12:13], s[8:9]
	v_add_nc_u64_e32 v[6:7], s[10:11], v[6:7]
	v_cmp_ge_i64_e32 vcc_lo, s[12:13], v[2:3]
	v_add_nc_u64_e32 v[8:9], s[10:11], v[8:9]
	v_add_nc_u64_e32 v[12:13], s[10:11], v[12:13]
	;; [unrolled: 1-line block ×11, first 2 shown]
	s_cbranch_vccnz .LBB13_25
.LBB13_9:                               ; =>This Inner Loop Header: Depth=1
	s_wait_loadcnt 0x0
	v_add_nc_u64_e32 v[36:37], s[12:13], v[0:1]
	v_mov_b32_e32 v38, 0
	s_delay_alu instid0(VALU_DEP_2)
	v_cmp_lt_u64_e32 vcc_lo, v[36:37], v[4:5]
	v_mov_b32_e32 v37, 0
	s_and_saveexec_b32 s1, vcc_lo
	s_cbranch_execz .LBB13_11
; %bb.10:                               ;   in Loop: Header=BB13_9 Depth=1
	v_add_nc_u64_e32 v[40:41], s[4:5], v[6:7]
	v_add_nc_u64_e32 v[42:43], s[4:5], v[8:9]
	global_load_b32 v37, v[40:41], off
	global_load_b32 v38, v[42:43], off
.LBB13_11:                              ;   in Loop: Header=BB13_9 Depth=1
	s_wait_xcnt 0x0
	s_or_b32 exec_lo, exec_lo, s1
	v_add_nc_u64_e32 v[40:41], s[12:13], v[10:11]
	v_dual_mov_b32 v36, 0 :: v_dual_mov_b32 v39, 0
	s_delay_alu instid0(VALU_DEP_2)
	v_cmp_lt_u64_e64 s1, v[40:41], v[4:5]
	v_mov_b32_e32 v40, 0
	s_and_saveexec_b32 s2, s1
	s_cbranch_execz .LBB13_13
; %bb.12:                               ;   in Loop: Header=BB13_9 Depth=1
	v_add_nc_u64_e32 v[42:43], s[4:5], v[24:25]
	v_add_nc_u64_e32 v[44:45], s[4:5], v[26:27]
	global_load_b32 v39, v[42:43], off
	global_load_b32 v40, v[44:45], off
.LBB13_13:                              ;   in Loop: Header=BB13_9 Depth=1
	s_wait_xcnt 0x0
	s_or_b32 exec_lo, exec_lo, s2
	v_add_nc_u64_e32 v[42:43], s[12:13], v[16:17]
	v_mov_b32_e32 v41, 0
	s_delay_alu instid0(VALU_DEP_2)
	v_cmp_lt_u64_e64 s2, v[42:43], v[4:5]
	s_and_saveexec_b32 s3, s2
	s_cbranch_execz .LBB13_15
; %bb.14:                               ;   in Loop: Header=BB13_9 Depth=1
	v_add_nc_u64_e32 v[42:43], s[4:5], v[28:29]
	v_add_nc_u64_e32 v[44:45], s[4:5], v[30:31]
	global_load_b32 v41, v[42:43], off
	global_load_b32 v36, v[44:45], off
.LBB13_15:                              ;   in Loop: Header=BB13_9 Depth=1
	s_wait_xcnt 0x0
	s_or_b32 exec_lo, exec_lo, s3
	v_add_nc_u64_e32 v[42:43], s[12:13], v[14:15]
	s_delay_alu instid0(VALU_DEP_1)
	v_cmp_lt_u64_e64 s3, v[42:43], v[4:5]
	v_dual_mov_b32 v43, 0 :: v_dual_mov_b32 v42, 0
	s_and_saveexec_b32 s14, s3
	s_cbranch_execnz .LBB13_20
; %bb.16:                               ;   in Loop: Header=BB13_9 Depth=1
	s_or_b32 exec_lo, exec_lo, s14
	s_and_saveexec_b32 s14, vcc_lo
	s_cbranch_execnz .LBB13_21
.LBB13_17:                              ;   in Loop: Header=BB13_9 Depth=1
	s_or_b32 exec_lo, exec_lo, s14
	s_and_saveexec_b32 s14, s1
	s_cbranch_execnz .LBB13_22
.LBB13_18:                              ;   in Loop: Header=BB13_9 Depth=1
	s_or_b32 exec_lo, exec_lo, s14
	s_and_saveexec_b32 s1, s2
	s_cbranch_execnz .LBB13_23
.LBB13_19:                              ;   in Loop: Header=BB13_9 Depth=1
	s_or_b32 exec_lo, exec_lo, s1
	s_and_saveexec_b32 s1, s3
	s_cbranch_execz .LBB13_8
	s_branch .LBB13_24
.LBB13_20:                              ;   in Loop: Header=BB13_9 Depth=1
	v_add_nc_u64_e32 v[44:45], s[4:5], v[18:19]
	v_add_nc_u64_e32 v[46:47], s[4:5], v[20:21]
	global_load_b32 v42, v[44:45], off
	global_load_b32 v43, v[46:47], off
	s_wait_xcnt 0x0
	s_or_b32 exec_lo, exec_lo, s14
	s_and_saveexec_b32 s14, vcc_lo
	s_cbranch_execz .LBB13_17
.LBB13_21:                              ;   in Loop: Header=BB13_9 Depth=1
	s_wait_loadcnt 0x0
	v_sub_f32_e32 v44, v38, v37
	s_delay_alu instid0(VALU_DEP_1) | instskip(SKIP_1) | instid1(VALU_DEP_2)
	v_dual_fmac_f32 v37, s6, v44 :: v_dual_fma_f32 v38, -s7, v44, v38
	v_add_nc_u64_e32 v[44:45], s[4:5], v[12:13]
	v_cndmask_b32_e64 v37, v38, v37, s0
	global_store_b32 v[44:45], v37, off
	s_wait_xcnt 0x0
	s_or_b32 exec_lo, exec_lo, s14
	s_and_saveexec_b32 s14, s1
	s_cbranch_execz .LBB13_18
.LBB13_22:                              ;   in Loop: Header=BB13_9 Depth=1
	s_wait_loadcnt 0x0
	v_sub_f32_e32 v37, v40, v39
	v_add_nc_u64_e32 v[44:45], s[4:5], v[34:35]
	s_delay_alu instid0(VALU_DEP_2) | instskip(NEXT) | instid1(VALU_DEP_1)
	v_dual_fmac_f32 v39, s6, v37 :: v_dual_fma_f32 v37, -s7, v37, v40
	v_cndmask_b32_e64 v37, v37, v39, s0
	global_store_b32 v[44:45], v37, off
	s_wait_xcnt 0x0
	s_or_b32 exec_lo, exec_lo, s14
	s_and_saveexec_b32 s1, s2
	s_cbranch_execz .LBB13_19
.LBB13_23:                              ;   in Loop: Header=BB13_9 Depth=1
	s_wait_loadcnt 0x0
	v_sub_f32_e32 v37, v36, v41
	s_delay_alu instid0(VALU_DEP_1) | instskip(SKIP_1) | instid1(VALU_DEP_2)
	v_dual_fmac_f32 v41, s6, v37 :: v_dual_fma_f32 v38, -s7, v37, v36
	v_add_nc_u64_e32 v[36:37], s[4:5], v[32:33]
	v_cndmask_b32_e64 v38, v38, v41, s0
	global_store_b32 v[36:37], v38, off
	s_wait_xcnt 0x0
	s_or_b32 exec_lo, exec_lo, s1
	s_and_saveexec_b32 s1, s3
	s_cbranch_execz .LBB13_8
.LBB13_24:                              ;   in Loop: Header=BB13_9 Depth=1
	s_wait_loadcnt 0x0
	v_sub_f32_e32 v36, v43, v42
	s_delay_alu instid0(VALU_DEP_1) | instskip(SKIP_1) | instid1(VALU_DEP_2)
	v_dual_fmac_f32 v42, s6, v36 :: v_dual_fma_f32 v38, -s7, v36, v43
	v_add_nc_u64_e32 v[36:37], s[4:5], v[22:23]
	v_cndmask_b32_e64 v38, v38, v42, s0
	global_store_b32 v[36:37], v38, off
	s_branch .LBB13_8
.LBB13_25:
	s_endpgm
	.section	.rodata,"a",@progbits
	.p2align	6, 0x0
	.amdhsa_kernel _ZN2at6native12_GLOBAL__N_125multi_tensor_apply_kernelINS1_18TensorListMetadataILi3EEENS1_22TernaryOpScalarFunctorIfLi3ELi2ELi2EEEJNS0_11LerpFunctorIfEEfEEEvT_T0_DpT1_
		.amdhsa_group_segment_fixed_size 0
		.amdhsa_private_segment_fixed_size 0
		.amdhsa_kernarg_size 3408
		.amdhsa_user_sgpr_count 2
		.amdhsa_user_sgpr_dispatch_ptr 0
		.amdhsa_user_sgpr_queue_ptr 0
		.amdhsa_user_sgpr_kernarg_segment_ptr 1
		.amdhsa_user_sgpr_dispatch_id 0
		.amdhsa_user_sgpr_kernarg_preload_length 0
		.amdhsa_user_sgpr_kernarg_preload_offset 0
		.amdhsa_user_sgpr_private_segment_size 0
		.amdhsa_wavefront_size32 1
		.amdhsa_uses_dynamic_stack 0
		.amdhsa_enable_private_segment 0
		.amdhsa_system_sgpr_workgroup_id_x 1
		.amdhsa_system_sgpr_workgroup_id_y 0
		.amdhsa_system_sgpr_workgroup_id_z 0
		.amdhsa_system_sgpr_workgroup_info 0
		.amdhsa_system_vgpr_workitem_id 0
		.amdhsa_next_free_vgpr 48
		.amdhsa_next_free_sgpr 24
		.amdhsa_named_barrier_count 0
		.amdhsa_reserve_vcc 1
		.amdhsa_float_round_mode_32 0
		.amdhsa_float_round_mode_16_64 0
		.amdhsa_float_denorm_mode_32 3
		.amdhsa_float_denorm_mode_16_64 3
		.amdhsa_fp16_overflow 0
		.amdhsa_memory_ordered 1
		.amdhsa_forward_progress 1
		.amdhsa_inst_pref_size 12
		.amdhsa_round_robin_scheduling 0
		.amdhsa_exception_fp_ieee_invalid_op 0
		.amdhsa_exception_fp_denorm_src 0
		.amdhsa_exception_fp_ieee_div_zero 0
		.amdhsa_exception_fp_ieee_overflow 0
		.amdhsa_exception_fp_ieee_underflow 0
		.amdhsa_exception_fp_ieee_inexact 0
		.amdhsa_exception_int_div_zero 0
	.end_amdhsa_kernel
	.section	.text._ZN2at6native12_GLOBAL__N_125multi_tensor_apply_kernelINS1_18TensorListMetadataILi3EEENS1_22TernaryOpScalarFunctorIfLi3ELi2ELi2EEEJNS0_11LerpFunctorIfEEfEEEvT_T0_DpT1_,"axG",@progbits,_ZN2at6native12_GLOBAL__N_125multi_tensor_apply_kernelINS1_18TensorListMetadataILi3EEENS1_22TernaryOpScalarFunctorIfLi3ELi2ELi2EEEJNS0_11LerpFunctorIfEEfEEEvT_T0_DpT1_,comdat
.Lfunc_end13:
	.size	_ZN2at6native12_GLOBAL__N_125multi_tensor_apply_kernelINS1_18TensorListMetadataILi3EEENS1_22TernaryOpScalarFunctorIfLi3ELi2ELi2EEEJNS0_11LerpFunctorIfEEfEEEvT_T0_DpT1_, .Lfunc_end13-_ZN2at6native12_GLOBAL__N_125multi_tensor_apply_kernelINS1_18TensorListMetadataILi3EEENS1_22TernaryOpScalarFunctorIfLi3ELi2ELi2EEEJNS0_11LerpFunctorIfEEfEEEvT_T0_DpT1_
                                        ; -- End function
	.set _ZN2at6native12_GLOBAL__N_125multi_tensor_apply_kernelINS1_18TensorListMetadataILi3EEENS1_22TernaryOpScalarFunctorIfLi3ELi2ELi2EEEJNS0_11LerpFunctorIfEEfEEEvT_T0_DpT1_.num_vgpr, 48
	.set _ZN2at6native12_GLOBAL__N_125multi_tensor_apply_kernelINS1_18TensorListMetadataILi3EEENS1_22TernaryOpScalarFunctorIfLi3ELi2ELi2EEEJNS0_11LerpFunctorIfEEfEEEvT_T0_DpT1_.num_agpr, 0
	.set _ZN2at6native12_GLOBAL__N_125multi_tensor_apply_kernelINS1_18TensorListMetadataILi3EEENS1_22TernaryOpScalarFunctorIfLi3ELi2ELi2EEEJNS0_11LerpFunctorIfEEfEEEvT_T0_DpT1_.numbered_sgpr, 24
	.set _ZN2at6native12_GLOBAL__N_125multi_tensor_apply_kernelINS1_18TensorListMetadataILi3EEENS1_22TernaryOpScalarFunctorIfLi3ELi2ELi2EEEJNS0_11LerpFunctorIfEEfEEEvT_T0_DpT1_.num_named_barrier, 0
	.set _ZN2at6native12_GLOBAL__N_125multi_tensor_apply_kernelINS1_18TensorListMetadataILi3EEENS1_22TernaryOpScalarFunctorIfLi3ELi2ELi2EEEJNS0_11LerpFunctorIfEEfEEEvT_T0_DpT1_.private_seg_size, 0
	.set _ZN2at6native12_GLOBAL__N_125multi_tensor_apply_kernelINS1_18TensorListMetadataILi3EEENS1_22TernaryOpScalarFunctorIfLi3ELi2ELi2EEEJNS0_11LerpFunctorIfEEfEEEvT_T0_DpT1_.uses_vcc, 1
	.set _ZN2at6native12_GLOBAL__N_125multi_tensor_apply_kernelINS1_18TensorListMetadataILi3EEENS1_22TernaryOpScalarFunctorIfLi3ELi2ELi2EEEJNS0_11LerpFunctorIfEEfEEEvT_T0_DpT1_.uses_flat_scratch, 0
	.set _ZN2at6native12_GLOBAL__N_125multi_tensor_apply_kernelINS1_18TensorListMetadataILi3EEENS1_22TernaryOpScalarFunctorIfLi3ELi2ELi2EEEJNS0_11LerpFunctorIfEEfEEEvT_T0_DpT1_.has_dyn_sized_stack, 0
	.set _ZN2at6native12_GLOBAL__N_125multi_tensor_apply_kernelINS1_18TensorListMetadataILi3EEENS1_22TernaryOpScalarFunctorIfLi3ELi2ELi2EEEJNS0_11LerpFunctorIfEEfEEEvT_T0_DpT1_.has_recursion, 0
	.set _ZN2at6native12_GLOBAL__N_125multi_tensor_apply_kernelINS1_18TensorListMetadataILi3EEENS1_22TernaryOpScalarFunctorIfLi3ELi2ELi2EEEJNS0_11LerpFunctorIfEEfEEEvT_T0_DpT1_.has_indirect_call, 0
	.section	.AMDGPU.csdata,"",@progbits
; Kernel info:
; codeLenInByte = 1444
; TotalNumSgprs: 26
; NumVgprs: 48
; ScratchSize: 0
; MemoryBound: 0
; FloatMode: 240
; IeeeMode: 1
; LDSByteSize: 0 bytes/workgroup (compile time only)
; SGPRBlocks: 0
; VGPRBlocks: 2
; NumSGPRsForWavesPerEU: 26
; NumVGPRsForWavesPerEU: 48
; NamedBarCnt: 0
; Occupancy: 16
; WaveLimiterHint : 0
; COMPUTE_PGM_RSRC2:SCRATCH_EN: 0
; COMPUTE_PGM_RSRC2:USER_SGPR: 2
; COMPUTE_PGM_RSRC2:TRAP_HANDLER: 0
; COMPUTE_PGM_RSRC2:TGID_X_EN: 1
; COMPUTE_PGM_RSRC2:TGID_Y_EN: 0
; COMPUTE_PGM_RSRC2:TGID_Z_EN: 0
; COMPUTE_PGM_RSRC2:TIDIG_COMP_CNT: 0
	.section	.text._ZN2at6native12_GLOBAL__N_125multi_tensor_apply_kernelINS1_18TensorListMetadataILi3EEENS1_22TernaryOpScalarFunctorIN3c107complexIdEELi3ELi2ELi2EEEJNS0_11LerpFunctorIS8_EES8_EEEvT_T0_DpT1_,"axG",@progbits,_ZN2at6native12_GLOBAL__N_125multi_tensor_apply_kernelINS1_18TensorListMetadataILi3EEENS1_22TernaryOpScalarFunctorIN3c107complexIdEELi3ELi2ELi2EEEJNS0_11LerpFunctorIS8_EES8_EEEvT_T0_DpT1_,comdat
	.globl	_ZN2at6native12_GLOBAL__N_125multi_tensor_apply_kernelINS1_18TensorListMetadataILi3EEENS1_22TernaryOpScalarFunctorIN3c107complexIdEELi3ELi2ELi2EEEJNS0_11LerpFunctorIS8_EES8_EEEvT_T0_DpT1_ ; -- Begin function _ZN2at6native12_GLOBAL__N_125multi_tensor_apply_kernelINS1_18TensorListMetadataILi3EEENS1_22TernaryOpScalarFunctorIN3c107complexIdEELi3ELi2ELi2EEEJNS0_11LerpFunctorIS8_EES8_EEEvT_T0_DpT1_
	.p2align	8
	.type	_ZN2at6native12_GLOBAL__N_125multi_tensor_apply_kernelINS1_18TensorListMetadataILi3EEENS1_22TernaryOpScalarFunctorIN3c107complexIdEELi3ELi2ELi2EEEJNS0_11LerpFunctorIS8_EES8_EEEvT_T0_DpT1_,@function
_ZN2at6native12_GLOBAL__N_125multi_tensor_apply_kernelINS1_18TensorListMetadataILi3EEENS1_22TernaryOpScalarFunctorIN3c107complexIdEELi3ELi2ELi2EEEJNS0_11LerpFunctorIS8_EES8_EEEvT_T0_DpT1_: ; @_ZN2at6native12_GLOBAL__N_125multi_tensor_apply_kernelINS1_18TensorListMetadataILi3EEENS1_22TernaryOpScalarFunctorIN3c107complexIdEELi3ELi2ELi2EEEJNS0_11LerpFunctorIS8_EES8_EEEvT_T0_DpT1_
; %bb.0:
	s_bfe_u32 s2, ttmp6, 0x4000c
	s_and_b32 s3, ttmp6, 15
	s_add_co_i32 s2, s2, 1
	s_getreg_b32 s4, hwreg(HW_REG_IB_STS2, 6, 4)
	s_mul_i32 s2, ttmp9, s2
	s_delay_alu instid0(SALU_CYCLE_1) | instskip(SKIP_3) | instid1(SALU_CYCLE_1)
	s_add_co_i32 s2, s3, s2
	s_cmp_eq_u32 s4, 0
	s_mov_b32 s3, 0
	s_cselect_b32 s2, ttmp9, s2
	s_add_nc_u64 s[4:5], s[0:1], s[2:3]
	s_mul_u64 s[6:7], s[2:3], 3
	s_delay_alu instid0(SALU_CYCLE_1)
	s_add_nc_u64 s[4:5], s[4:5], s[6:7]
	s_clause 0x1
	s_load_b32 s8, s[4:5], 0x740
	s_load_u8 s6, s[0:1], s2 offset:0x600
	s_wait_kmcnt 0x0
	s_clause 0x3
	s_load_b64 s[4:5], s[0:1], s6 offset:0x180 scale_offset
	s_load_b64 s[10:11], s[0:1], s6 offset:0x300 scale_offset
	;; [unrolled: 1-line block ×4, first 2 shown]
	s_ashr_i32 s9, s8, 31
	s_delay_alu instid0(SALU_CYCLE_1)
	s_lshl_b64 s[18:19], s[8:9], 20
	s_wait_kmcnt 0x0
	s_add_nc_u64 s[6:7], s[4:5], s[18:19]
	s_add_nc_u64 s[12:13], s[10:11], s[18:19]
	s_lshl_b64 s[4:5], s[8:9], 16
	s_load_b128 s[8:11], s[0:1], 0xc50
	s_or_b32 s2, s12, s6
	s_add_nc_u64 s[14:15], s[14:15], s[18:19]
	s_and_b32 s2, s2, 63
	s_and_b64 s[18:19], s[14:15], 63
	s_cmp_lg_u32 s2, 0
	s_sub_nc_u64 s[4:5], s[16:17], s[4:5]
	s_cselect_b32 s20, -1, 0
	s_and_b32 s2, s16, 3
	s_delay_alu instid0(SALU_CYCLE_1) | instskip(NEXT) | instid1(SALU_CYCLE_1)
	s_or_b64 s[2:3], s[18:19], s[2:3]
	s_cmp_lg_u64 s[2:3], 0
	s_cselect_b32 s2, -1, 0
	s_delay_alu instid0(SALU_CYCLE_1) | instskip(NEXT) | instid1(SALU_CYCLE_1)
	s_or_b32 s2, s20, s2
	s_and_not1_b32 vcc_lo, exec_lo, s2
	s_mov_b32 s2, -1
	s_cbranch_vccz .LBB14_21
; %bb.1:
	v_min_i64 v[38:39], 0x10000, s[4:5]
	v_dual_mov_b32 v41, 0 :: v_dual_lshlrev_b32 v40, 2, v0
	s_mov_b32 s3, exec_lo
	s_delay_alu instid0(VALU_DEP_1)
	v_cmpx_lt_i64_e64 v[40:41], v[38:39]
	s_cbranch_execz .LBB14_20
; %bb.2:
	s_wait_kmcnt 0x0
	v_mul_f64_e64 v[2:3], s[10:11], s[10:11]
	v_add_f64_e64 v[42:43], -s[8:9], 1.0
	v_add_f64_e64 v[44:45], -s[10:11], 0
	s_load_b32 s16, s[0:1], 0xc6c
	v_dual_mov_b32 v1, v41 :: v_dual_lshlrev_b32 v40, 6, v0
	s_mov_b32 s17, 0
	s_mov_b64 s[20:21], s[6:7]
	s_mov_b32 s19, s17
	s_delay_alu instid0(VALU_DEP_1)
	v_mov_b64_e32 v[46:47], v[0:1]
	s_mov_b32 s26, s17
	s_mov_b64 s[22:23], s[14:15]
	s_mov_b64 s[24:25], s[12:13]
	s_wait_kmcnt 0x0
	s_and_b32 s16, s16, 0xffff
	s_delay_alu instid0(SALU_CYCLE_1) | instskip(SKIP_1) | instid1(VALU_DEP_1)
	s_lshl_b32 s18, s16, 6
	v_fmac_f64_e64 v[2:3], s[8:9], s[8:9]
	v_cmp_ngt_f64_e64 s2, 0x3fd00000, v[2:3]
	s_branch .LBB14_4
.LBB14_3:                               ;   in Loop: Header=BB14_4 Depth=1
	v_add_nc_u64_e32 v[46:47], s[16:17], v[46:47]
	v_add_nc_u64_e32 v[8:9], s[24:25], v[40:41]
	s_add_nc_u64 s[24:25], s[24:25], s[18:19]
	s_add_nc_u64 s[22:23], s[22:23], s[18:19]
	;; [unrolled: 1-line block ×3, first 2 shown]
	s_clause 0x1
	global_store_b128 v[8:9], v[2:5], off
	global_store_b128 v[8:9], v[14:17], off offset:16
	v_lshlrev_b64_e32 v[6:7], 2, v[46:47]
	s_clause 0x1
	global_store_b128 v[8:9], v[26:29], off offset:32
	global_store_b128 v[8:9], v[18:21], off offset:48
	v_cmp_ge_i64_e32 vcc_lo, v[6:7], v[38:39]
	s_or_b32 s26, vcc_lo, s26
	s_wait_xcnt 0x0
	s_and_not1_b32 exec_lo, exec_lo, s26
	s_cbranch_execz .LBB14_20
.LBB14_4:                               ; =>This Inner Loop Header: Depth=1
	v_add_nc_u64_e32 v[2:3], s[20:21], v[40:41]
	v_add_nc_u64_e32 v[4:5], s[22:23], v[40:41]
	s_delay_alu instid0(VALU_DEP_3)
	s_and_b32 vcc_lo, exec_lo, s2
	s_mov_b32 s27, -1
	global_load_b128 v[34:37], v[2:3], off
	s_clause 0x1
	global_load_b128 v[14:17], v[4:5], off
	global_load_b128 v[26:29], v[4:5], off offset:16
	global_load_b128 v[30:33], v[2:3], off offset:16
	s_clause 0x1
	global_load_b128 v[6:9], v[4:5], off offset:48
	global_load_b128 v[18:21], v[4:5], off offset:32
	s_clause 0x1
	global_load_b128 v[10:13], v[2:3], off offset:48
	global_load_b128 v[22:25], v[2:3], off offset:32
                                        ; implicit-def: $vgpr4_vgpr5
	s_wait_loadcnt 0x6
	v_add_f64_e64 v[48:49], v[34:35], -v[14:15]
	v_add_f64_e64 v[50:51], v[36:37], -v[16:17]
	s_cbranch_vccz .LBB14_6
; %bb.5:                                ;   in Loop: Header=BB14_4 Depth=1
	s_wait_xcnt 0x0
	s_delay_alu instid0(VALU_DEP_1) | instskip(SKIP_2) | instid1(VALU_DEP_2)
	v_mul_f64_e32 v[2:3], v[44:45], v[50:51]
	v_mul_f64_e32 v[4:5], v[42:43], v[50:51]
	s_mov_b32 s27, 0
	v_fma_f64 v[2:3], v[42:43], v[48:49], -v[2:3]
	s_delay_alu instid0(VALU_DEP_2) | instskip(NEXT) | instid1(VALU_DEP_2)
	v_fmac_f64_e32 v[4:5], v[44:45], v[48:49]
	v_add_f64_e64 v[2:3], v[34:35], -v[2:3]
	s_delay_alu instid0(VALU_DEP_2)
	v_add_f64_e64 v[4:5], v[36:37], -v[4:5]
.LBB14_6:                               ;   in Loop: Header=BB14_4 Depth=1
	s_and_not1_b32 vcc_lo, exec_lo, s27
	s_cbranch_vccnz .LBB14_8
; %bb.7:                                ;   in Loop: Header=BB14_4 Depth=1
	s_wait_xcnt 0x0
	s_delay_alu instid0(VALU_DEP_1) | instskip(SKIP_1) | instid1(VALU_DEP_2)
	v_mul_f64_e32 v[2:3], s[10:11], v[50:51]
	v_mul_f64_e32 v[4:5], s[8:9], v[50:51]
	v_fma_f64 v[2:3], s[8:9], v[48:49], -v[2:3]
	s_delay_alu instid0(VALU_DEP_2) | instskip(NEXT) | instid1(VALU_DEP_2)
	v_fmac_f64_e32 v[4:5], s[10:11], v[48:49]
	v_add_f64_e32 v[2:3], v[14:15], v[2:3]
	s_delay_alu instid0(VALU_DEP_2)
	v_add_f64_e32 v[4:5], v[16:17], v[4:5]
.LBB14_8:                               ;   in Loop: Header=BB14_4 Depth=1
	s_wait_loadcnt 0x4
	v_add_f64_e64 v[34:35], v[30:31], -v[26:27]
	v_add_f64_e64 v[36:37], v[32:33], -v[28:29]
	s_and_not1_b32 vcc_lo, exec_lo, s2
	s_mov_b32 s27, -1
                                        ; implicit-def: $vgpr16_vgpr17
	s_cbranch_vccnz .LBB14_10
; %bb.9:                                ;   in Loop: Header=BB14_4 Depth=1
	s_delay_alu instid0(VALU_DEP_1) | instskip(SKIP_2) | instid1(VALU_DEP_2)
	v_mul_f64_e32 v[14:15], v[44:45], v[36:37]
	v_mul_f64_e32 v[16:17], v[42:43], v[36:37]
	s_mov_b32 s27, 0
	v_fma_f64 v[14:15], v[42:43], v[34:35], -v[14:15]
	s_delay_alu instid0(VALU_DEP_2) | instskip(NEXT) | instid1(VALU_DEP_2)
	v_fmac_f64_e32 v[16:17], v[44:45], v[34:35]
	v_add_f64_e64 v[14:15], v[30:31], -v[14:15]
	s_delay_alu instid0(VALU_DEP_2)
	v_add_f64_e64 v[16:17], v[32:33], -v[16:17]
.LBB14_10:                              ;   in Loop: Header=BB14_4 Depth=1
	s_and_not1_b32 vcc_lo, exec_lo, s27
	s_cbranch_vccnz .LBB14_12
; %bb.11:                               ;   in Loop: Header=BB14_4 Depth=1
	s_delay_alu instid0(VALU_DEP_1) | instskip(SKIP_1) | instid1(VALU_DEP_2)
	v_mul_f64_e32 v[14:15], s[10:11], v[36:37]
	v_mul_f64_e32 v[16:17], s[8:9], v[36:37]
	v_fma_f64 v[14:15], s[8:9], v[34:35], -v[14:15]
	s_delay_alu instid0(VALU_DEP_2) | instskip(NEXT) | instid1(VALU_DEP_2)
	v_fmac_f64_e32 v[16:17], s[10:11], v[34:35]
	v_add_f64_e32 v[14:15], v[26:27], v[14:15]
	s_delay_alu instid0(VALU_DEP_2)
	v_add_f64_e32 v[16:17], v[28:29], v[16:17]
.LBB14_12:                              ;   in Loop: Header=BB14_4 Depth=1
	s_wait_loadcnt 0x0
	v_add_f64_e64 v[30:31], v[22:23], -v[18:19]
	v_add_f64_e64 v[32:33], v[24:25], -v[20:21]
	s_and_not1_b32 vcc_lo, exec_lo, s2
	s_mov_b32 s27, -1
                                        ; implicit-def: $vgpr28_vgpr29
	s_cbranch_vccnz .LBB14_14
; %bb.13:                               ;   in Loop: Header=BB14_4 Depth=1
	s_delay_alu instid0(VALU_DEP_1) | instskip(SKIP_2) | instid1(VALU_DEP_2)
	v_mul_f64_e32 v[26:27], v[44:45], v[32:33]
	v_mul_f64_e32 v[28:29], v[42:43], v[32:33]
	s_mov_b32 s27, 0
	v_fma_f64 v[26:27], v[42:43], v[30:31], -v[26:27]
	s_delay_alu instid0(VALU_DEP_2) | instskip(NEXT) | instid1(VALU_DEP_2)
	v_fmac_f64_e32 v[28:29], v[44:45], v[30:31]
	v_add_f64_e64 v[26:27], v[22:23], -v[26:27]
	s_delay_alu instid0(VALU_DEP_2)
	v_add_f64_e64 v[28:29], v[24:25], -v[28:29]
.LBB14_14:                              ;   in Loop: Header=BB14_4 Depth=1
	s_and_not1_b32 vcc_lo, exec_lo, s27
	s_cbranch_vccnz .LBB14_16
; %bb.15:                               ;   in Loop: Header=BB14_4 Depth=1
	s_delay_alu instid0(VALU_DEP_1) | instskip(SKIP_1) | instid1(VALU_DEP_2)
	v_mul_f64_e32 v[22:23], s[10:11], v[32:33]
	v_mul_f64_e32 v[24:25], s[8:9], v[32:33]
	v_fma_f64 v[22:23], s[8:9], v[30:31], -v[22:23]
	s_delay_alu instid0(VALU_DEP_2) | instskip(NEXT) | instid1(VALU_DEP_2)
	v_fmac_f64_e32 v[24:25], s[10:11], v[30:31]
	v_add_f64_e32 v[26:27], v[18:19], v[22:23]
	s_delay_alu instid0(VALU_DEP_2)
	v_add_f64_e32 v[28:29], v[20:21], v[24:25]
.LBB14_16:                              ;   in Loop: Header=BB14_4 Depth=1
	v_add_f64_e64 v[22:23], v[10:11], -v[6:7]
	v_add_f64_e64 v[24:25], v[12:13], -v[8:9]
	s_and_not1_b32 vcc_lo, exec_lo, s2
	s_mov_b32 s27, -1
                                        ; implicit-def: $vgpr20_vgpr21
	s_cbranch_vccnz .LBB14_18
; %bb.17:                               ;   in Loop: Header=BB14_4 Depth=1
	s_delay_alu instid0(VALU_DEP_1) | instskip(SKIP_2) | instid1(VALU_DEP_2)
	v_mul_f64_e32 v[18:19], v[44:45], v[24:25]
	v_mul_f64_e32 v[20:21], v[42:43], v[24:25]
	s_mov_b32 s27, 0
	v_fma_f64 v[18:19], v[42:43], v[22:23], -v[18:19]
	s_delay_alu instid0(VALU_DEP_2) | instskip(NEXT) | instid1(VALU_DEP_2)
	v_fmac_f64_e32 v[20:21], v[44:45], v[22:23]
	v_add_f64_e64 v[18:19], v[10:11], -v[18:19]
	s_delay_alu instid0(VALU_DEP_2)
	v_add_f64_e64 v[20:21], v[12:13], -v[20:21]
.LBB14_18:                              ;   in Loop: Header=BB14_4 Depth=1
	s_and_not1_b32 vcc_lo, exec_lo, s27
	s_cbranch_vccnz .LBB14_3
; %bb.19:                               ;   in Loop: Header=BB14_4 Depth=1
	s_delay_alu instid0(VALU_DEP_1) | instskip(SKIP_1) | instid1(VALU_DEP_2)
	v_mul_f64_e32 v[10:11], s[10:11], v[24:25]
	v_mul_f64_e32 v[12:13], s[8:9], v[24:25]
	v_fma_f64 v[10:11], s[8:9], v[22:23], -v[10:11]
	s_delay_alu instid0(VALU_DEP_2) | instskip(NEXT) | instid1(VALU_DEP_2)
	v_fmac_f64_e32 v[12:13], s[10:11], v[22:23]
	v_add_f64_e32 v[18:19], v[6:7], v[10:11]
	s_delay_alu instid0(VALU_DEP_2)
	v_add_f64_e32 v[20:21], v[8:9], v[12:13]
	s_branch .LBB14_3
.LBB14_20:
	s_or_b32 exec_lo, exec_lo, s3
	s_mov_b32 s2, 0
.LBB14_21:
	s_delay_alu instid0(SALU_CYCLE_1)
	s_and_not1_b32 vcc_lo, exec_lo, s2
	s_cbranch_vccnz .LBB14_57
; %bb.22:
	v_cmp_lt_i64_e64 s2, s[4:5], 1
	s_and_b32 vcc_lo, exec_lo, s2
	s_cbranch_vccnz .LBB14_57
; %bb.23:
	s_wait_kmcnt 0x0
	v_mul_f64_e64 v[2:3], s[10:11], s[10:11]
	v_min_i64 v[38:39], 0x10000, s[4:5]
	v_min_u64 v[40:41], 0x10000, s[4:5]
	v_add_f64_e64 v[42:43], -s[8:9], 1.0
	v_add_f64_e64 v[44:45], -s[10:11], 0
	s_load_b32 s0, s[0:1], 0xc6c
	v_mov_b32_e32 v1, 0
	s_mov_b32 s17, 0
	s_mov_b64 s[22:23], 0
	s_mov_b32 s19, s17
	s_mov_b32 s21, s17
	;; [unrolled: 1-line block ×3, first 2 shown]
	s_wait_kmcnt 0x0
	s_and_b32 s16, s0, 0xffff
	s_delay_alu instid0(SALU_CYCLE_1) | instskip(SKIP_3) | instid1(VALU_DEP_1)
	s_lshl_b32 s18, s16, 1
	s_mul_i32 s20, s16, 3
	s_lshl_b32 s24, s16, 2
	v_fmac_f64_e64 v[2:3], s[8:9], s[8:9]
	v_cmp_ngt_f64_e64 s2, 0x3fd00000, v[2:3]
	s_branch .LBB14_25
.LBB14_24:                              ;   in Loop: Header=BB14_25 Depth=1
	s_wait_xcnt 0x0
	s_or_b32 exec_lo, exec_lo, s0
	s_add_nc_u64 s[22:23], s[22:23], s[24:25]
	s_delay_alu instid0(SALU_CYCLE_1)
	v_cmp_ge_i64_e32 vcc_lo, s[22:23], v[38:39]
	s_cbranch_vccnz .LBB14_57
.LBB14_25:                              ; =>This Inner Loop Header: Depth=1
	v_add_nc_u64_e32 v[46:47], s[22:23], v[0:1]
	v_mov_b64_e32 v[8:9], 0
	v_mov_b64_e32 v[36:37], 0
	;; [unrolled: 1-line block ×5, first 2 shown]
	v_cmp_lt_u64_e64 s0, v[46:47], v[40:41]
	s_and_saveexec_b32 s1, s0
	s_cbranch_execz .LBB14_27
; %bb.26:                               ;   in Loop: Header=BB14_25 Depth=1
	v_lshlrev_b64_e32 v[2:3], 4, v[46:47]
	s_delay_alu instid0(VALU_DEP_1)
	v_add_nc_u64_e32 v[4:5], s[14:15], v[2:3]
	v_add_nc_u64_e32 v[2:3], s[6:7], v[2:3]
	global_load_b128 v[22:25], v[4:5], off
	global_load_b128 v[34:37], v[2:3], off
.LBB14_27:                              ;   in Loop: Header=BB14_25 Depth=1
	s_wait_xcnt 0x0
	s_or_b32 exec_lo, exec_lo, s1
	v_add_nc_u64_e32 v[48:49], s[16:17], v[46:47]
	v_mov_b64_e32 v[6:7], 0
	v_mov_b64_e32 v[20:21], 0
	;; [unrolled: 1-line block ×3, first 2 shown]
	s_delay_alu instid0(VALU_DEP_4)
	v_cmp_lt_u64_e64 s1, v[48:49], v[40:41]
	s_and_saveexec_b32 s3, s1
	s_cbranch_execz .LBB14_29
; %bb.28:                               ;   in Loop: Header=BB14_25 Depth=1
	v_lshlrev_b64_e32 v[2:3], 4, v[48:49]
	s_delay_alu instid0(VALU_DEP_1)
	v_add_nc_u64_e32 v[4:5], s[14:15], v[2:3]
	v_add_nc_u64_e32 v[2:3], s[6:7], v[2:3]
	global_load_b128 v[18:21], v[4:5], off
	global_load_b128 v[6:9], v[2:3], off
.LBB14_29:                              ;   in Loop: Header=BB14_25 Depth=1
	s_wait_xcnt 0x0
	s_or_b32 exec_lo, exec_lo, s3
	v_add_nc_u64_e32 v[50:51], s[18:19], v[46:47]
	v_mov_b64_e32 v[4:5], 0
	v_mov_b64_e32 v[28:29], 0
	;; [unrolled: 1-line block ×5, first 2 shown]
	v_cmp_lt_u64_e64 s3, v[50:51], v[40:41]
	s_and_saveexec_b32 s4, s3
	s_cbranch_execz .LBB14_31
; %bb.30:                               ;   in Loop: Header=BB14_25 Depth=1
	v_lshlrev_b64_e32 v[2:3], 4, v[50:51]
	s_delay_alu instid0(VALU_DEP_1)
	v_add_nc_u64_e32 v[10:11], s[14:15], v[2:3]
	v_add_nc_u64_e32 v[2:3], s[6:7], v[2:3]
	global_load_b128 v[14:17], v[10:11], off
	global_load_b128 v[26:29], v[2:3], off
.LBB14_31:                              ;   in Loop: Header=BB14_25 Depth=1
	s_wait_xcnt 0x0
	s_or_b32 exec_lo, exec_lo, s4
	v_add_nc_u64_e32 v[52:53], s[20:21], v[46:47]
	v_mov_b64_e32 v[2:3], 0
	v_mov_b64_e32 v[12:13], 0
	;; [unrolled: 1-line block ×3, first 2 shown]
	s_delay_alu instid0(VALU_DEP_4)
	v_cmp_lt_u64_e64 s4, v[52:53], v[40:41]
	s_and_saveexec_b32 s5, s4
	s_cbranch_execz .LBB14_33
; %bb.32:                               ;   in Loop: Header=BB14_25 Depth=1
	v_lshlrev_b64_e32 v[2:3], 4, v[52:53]
	s_delay_alu instid0(VALU_DEP_1)
	v_add_nc_u64_e32 v[30:31], s[14:15], v[2:3]
	v_add_nc_u64_e32 v[32:33], s[6:7], v[2:3]
	global_load_b128 v[10:13], v[30:31], off
	global_load_b128 v[2:5], v[32:33], off
.LBB14_33:                              ;   in Loop: Header=BB14_25 Depth=1
	s_wait_xcnt 0x0
	s_or_b32 exec_lo, exec_lo, s5
	s_wait_loadcnt 0x0
	v_add_f64_e64 v[56:57], v[34:35], -v[22:23]
	v_add_f64_e64 v[54:55], v[36:37], -v[24:25]
	s_and_b32 vcc_lo, exec_lo, s2
	s_mov_b32 s5, -1
                                        ; implicit-def: $vgpr32_vgpr33
	s_cbranch_vccz .LBB14_35
; %bb.34:                               ;   in Loop: Header=BB14_25 Depth=1
	s_delay_alu instid0(VALU_DEP_1) | instskip(NEXT) | instid1(VALU_DEP_3)
	v_mul_f64_e32 v[30:31], v[44:45], v[54:55]
	v_mul_f64_e32 v[32:33], v[44:45], v[56:57]
	s_mov_b32 s5, 0
	s_delay_alu instid0(VALU_DEP_2) | instskip(NEXT) | instid1(VALU_DEP_2)
	v_fma_f64 v[30:31], v[42:43], v[56:57], -v[30:31]
	v_fmac_f64_e32 v[32:33], v[42:43], v[54:55]
	s_delay_alu instid0(VALU_DEP_2) | instskip(NEXT) | instid1(VALU_DEP_2)
	v_add_f64_e64 v[30:31], v[34:35], -v[30:31]
	v_add_f64_e64 v[32:33], v[36:37], -v[32:33]
.LBB14_35:                              ;   in Loop: Header=BB14_25 Depth=1
	s_and_not1_b32 vcc_lo, exec_lo, s5
	s_cbranch_vccnz .LBB14_37
; %bb.36:                               ;   in Loop: Header=BB14_25 Depth=1
	s_delay_alu instid0(VALU_DEP_1) | instskip(NEXT) | instid1(VALU_DEP_3)
	v_mul_f64_e32 v[30:31], s[10:11], v[54:55]
	v_mul_f64_e32 v[32:33], s[10:11], v[56:57]
	s_delay_alu instid0(VALU_DEP_2) | instskip(NEXT) | instid1(VALU_DEP_2)
	v_fma_f64 v[30:31], s[8:9], v[56:57], -v[30:31]
	v_fmac_f64_e32 v[32:33], s[8:9], v[54:55]
	s_delay_alu instid0(VALU_DEP_2) | instskip(NEXT) | instid1(VALU_DEP_2)
	v_add_f64_e32 v[30:31], v[22:23], v[30:31]
	v_add_f64_e32 v[32:33], v[24:25], v[32:33]
.LBB14_37:                              ;   in Loop: Header=BB14_25 Depth=1
	v_add_f64_e64 v[36:37], v[6:7], -v[18:19]
	v_add_f64_e64 v[34:35], v[8:9], -v[20:21]
	s_and_not1_b32 vcc_lo, exec_lo, s2
	s_mov_b32 s5, -1
                                        ; implicit-def: $vgpr24_vgpr25
	s_cbranch_vccnz .LBB14_39
; %bb.38:                               ;   in Loop: Header=BB14_25 Depth=1
	s_delay_alu instid0(VALU_DEP_1) | instskip(NEXT) | instid1(VALU_DEP_3)
	v_mul_f64_e32 v[22:23], v[44:45], v[34:35]
	v_mul_f64_e32 v[24:25], v[44:45], v[36:37]
	s_mov_b32 s5, 0
	s_delay_alu instid0(VALU_DEP_2) | instskip(NEXT) | instid1(VALU_DEP_2)
	v_fma_f64 v[22:23], v[42:43], v[36:37], -v[22:23]
	v_fmac_f64_e32 v[24:25], v[42:43], v[34:35]
	s_delay_alu instid0(VALU_DEP_2) | instskip(NEXT) | instid1(VALU_DEP_2)
	v_add_f64_e64 v[22:23], v[6:7], -v[22:23]
	v_add_f64_e64 v[24:25], v[8:9], -v[24:25]
.LBB14_39:                              ;   in Loop: Header=BB14_25 Depth=1
	s_and_not1_b32 vcc_lo, exec_lo, s5
	s_cbranch_vccnz .LBB14_41
; %bb.40:                               ;   in Loop: Header=BB14_25 Depth=1
	s_delay_alu instid0(VALU_DEP_1) | instskip(NEXT) | instid1(VALU_DEP_3)
	v_mul_f64_e32 v[6:7], s[10:11], v[34:35]
	v_mul_f64_e32 v[8:9], s[10:11], v[36:37]
	s_delay_alu instid0(VALU_DEP_2) | instskip(NEXT) | instid1(VALU_DEP_2)
	v_fma_f64 v[6:7], s[8:9], v[36:37], -v[6:7]
	v_fmac_f64_e32 v[8:9], s[8:9], v[34:35]
	s_delay_alu instid0(VALU_DEP_2) | instskip(NEXT) | instid1(VALU_DEP_2)
	v_add_f64_e32 v[22:23], v[18:19], v[6:7]
	v_add_f64_e32 v[24:25], v[20:21], v[8:9]
.LBB14_41:                              ;   in Loop: Header=BB14_25 Depth=1
	v_add_f64_e64 v[20:21], v[26:27], -v[14:15]
	v_add_f64_e64 v[18:19], v[28:29], -v[16:17]
	s_and_not1_b32 vcc_lo, exec_lo, s2
	s_mov_b32 s5, -1
                                        ; implicit-def: $vgpr8_vgpr9
	s_cbranch_vccnz .LBB14_43
; %bb.42:                               ;   in Loop: Header=BB14_25 Depth=1
	s_delay_alu instid0(VALU_DEP_1) | instskip(NEXT) | instid1(VALU_DEP_3)
	v_mul_f64_e32 v[6:7], v[44:45], v[18:19]
	v_mul_f64_e32 v[8:9], v[44:45], v[20:21]
	s_mov_b32 s5, 0
	s_delay_alu instid0(VALU_DEP_2) | instskip(NEXT) | instid1(VALU_DEP_2)
	v_fma_f64 v[6:7], v[42:43], v[20:21], -v[6:7]
	v_fmac_f64_e32 v[8:9], v[42:43], v[18:19]
	s_delay_alu instid0(VALU_DEP_2) | instskip(NEXT) | instid1(VALU_DEP_2)
	v_add_f64_e64 v[6:7], v[26:27], -v[6:7]
	v_add_f64_e64 v[8:9], v[28:29], -v[8:9]
.LBB14_43:                              ;   in Loop: Header=BB14_25 Depth=1
	s_and_not1_b32 vcc_lo, exec_lo, s5
	s_cbranch_vccnz .LBB14_45
; %bb.44:                               ;   in Loop: Header=BB14_25 Depth=1
	s_delay_alu instid0(VALU_DEP_1) | instskip(NEXT) | instid1(VALU_DEP_3)
	v_mul_f64_e32 v[6:7], s[10:11], v[18:19]
	v_mul_f64_e32 v[8:9], s[10:11], v[20:21]
	s_delay_alu instid0(VALU_DEP_2) | instskip(NEXT) | instid1(VALU_DEP_2)
	v_fma_f64 v[6:7], s[8:9], v[20:21], -v[6:7]
	v_fmac_f64_e32 v[8:9], s[8:9], v[18:19]
	s_delay_alu instid0(VALU_DEP_2) | instskip(NEXT) | instid1(VALU_DEP_2)
	v_add_f64_e32 v[6:7], v[14:15], v[6:7]
	v_add_f64_e32 v[8:9], v[16:17], v[8:9]
.LBB14_45:                              ;   in Loop: Header=BB14_25 Depth=1
	v_add_f64_e64 v[20:21], v[2:3], -v[10:11]
	v_add_f64_e64 v[18:19], v[4:5], -v[12:13]
	s_and_not1_b32 vcc_lo, exec_lo, s2
	s_mov_b32 s5, -1
                                        ; implicit-def: $vgpr16_vgpr17
	s_cbranch_vccz .LBB14_51
; %bb.46:                               ;   in Loop: Header=BB14_25 Depth=1
	s_and_not1_b32 vcc_lo, exec_lo, s5
	s_cbranch_vccz .LBB14_52
.LBB14_47:                              ;   in Loop: Header=BB14_25 Depth=1
	s_and_saveexec_b32 s5, s0
	s_delay_alu instid0(SALU_CYCLE_1)
	s_xor_b32 s0, exec_lo, s5
	s_cbranch_execnz .LBB14_53
.LBB14_48:                              ;   in Loop: Header=BB14_25 Depth=1
	s_or_b32 exec_lo, exec_lo, s0
	s_and_saveexec_b32 s0, s1
	s_cbranch_execnz .LBB14_54
.LBB14_49:                              ;   in Loop: Header=BB14_25 Depth=1
	s_or_b32 exec_lo, exec_lo, s0
	s_and_saveexec_b32 s0, s3
	s_cbranch_execnz .LBB14_55
.LBB14_50:                              ;   in Loop: Header=BB14_25 Depth=1
	s_or_b32 exec_lo, exec_lo, s0
	s_and_saveexec_b32 s0, s4
	s_cbranch_execz .LBB14_24
	s_branch .LBB14_56
.LBB14_51:                              ;   in Loop: Header=BB14_25 Depth=1
	s_delay_alu instid0(VALU_DEP_1) | instskip(NEXT) | instid1(VALU_DEP_3)
	v_mul_f64_e32 v[14:15], v[44:45], v[18:19]
	v_mul_f64_e32 v[16:17], v[44:45], v[20:21]
	s_delay_alu instid0(VALU_DEP_2) | instskip(NEXT) | instid1(VALU_DEP_2)
	v_fma_f64 v[14:15], v[42:43], v[20:21], -v[14:15]
	v_fmac_f64_e32 v[16:17], v[42:43], v[18:19]
	s_delay_alu instid0(VALU_DEP_2) | instskip(NEXT) | instid1(VALU_DEP_2)
	v_add_f64_e64 v[14:15], v[2:3], -v[14:15]
	v_add_f64_e64 v[16:17], v[4:5], -v[16:17]
	s_cbranch_execnz .LBB14_47
.LBB14_52:                              ;   in Loop: Header=BB14_25 Depth=1
	s_delay_alu instid0(VALU_DEP_1) | instskip(NEXT) | instid1(VALU_DEP_3)
	v_mul_f64_e32 v[2:3], s[10:11], v[18:19]
	v_mul_f64_e32 v[4:5], s[10:11], v[20:21]
	s_delay_alu instid0(VALU_DEP_2) | instskip(NEXT) | instid1(VALU_DEP_2)
	v_fma_f64 v[2:3], s[8:9], v[20:21], -v[2:3]
	v_fmac_f64_e32 v[4:5], s[8:9], v[18:19]
	s_delay_alu instid0(VALU_DEP_2) | instskip(NEXT) | instid1(VALU_DEP_2)
	v_add_f64_e32 v[14:15], v[10:11], v[2:3]
	v_add_f64_e32 v[16:17], v[12:13], v[4:5]
	s_and_saveexec_b32 s5, s0
	s_delay_alu instid0(SALU_CYCLE_1)
	s_xor_b32 s0, exec_lo, s5
	s_cbranch_execz .LBB14_48
.LBB14_53:                              ;   in Loop: Header=BB14_25 Depth=1
	v_lshl_add_u64 v[2:3], v[46:47], 4, s[12:13]
	global_store_b128 v[2:3], v[30:33], off
	s_wait_xcnt 0x0
	s_or_b32 exec_lo, exec_lo, s0
	s_and_saveexec_b32 s0, s1
	s_cbranch_execz .LBB14_49
.LBB14_54:                              ;   in Loop: Header=BB14_25 Depth=1
	v_lshl_add_u64 v[2:3], v[48:49], 4, s[12:13]
	global_store_b128 v[2:3], v[22:25], off
	s_wait_xcnt 0x0
	s_or_b32 exec_lo, exec_lo, s0
	s_and_saveexec_b32 s0, s3
	s_cbranch_execz .LBB14_50
.LBB14_55:                              ;   in Loop: Header=BB14_25 Depth=1
	v_lshl_add_u64 v[2:3], v[50:51], 4, s[12:13]
	global_store_b128 v[2:3], v[6:9], off
	s_wait_xcnt 0x0
	s_or_b32 exec_lo, exec_lo, s0
	s_and_saveexec_b32 s0, s4
	s_cbranch_execz .LBB14_24
.LBB14_56:                              ;   in Loop: Header=BB14_25 Depth=1
	v_lshl_add_u64 v[2:3], v[52:53], 4, s[12:13]
	global_store_b128 v[2:3], v[14:17], off
	s_branch .LBB14_24
.LBB14_57:
	s_endpgm
	.section	.rodata,"a",@progbits
	.p2align	6, 0x0
	.amdhsa_kernel _ZN2at6native12_GLOBAL__N_125multi_tensor_apply_kernelINS1_18TensorListMetadataILi3EEENS1_22TernaryOpScalarFunctorIN3c107complexIdEELi3ELi2ELi2EEEJNS0_11LerpFunctorIS8_EES8_EEEvT_T0_DpT1_
		.amdhsa_group_segment_fixed_size 0
		.amdhsa_private_segment_fixed_size 0
		.amdhsa_kernarg_size 3424
		.amdhsa_user_sgpr_count 2
		.amdhsa_user_sgpr_dispatch_ptr 0
		.amdhsa_user_sgpr_queue_ptr 0
		.amdhsa_user_sgpr_kernarg_segment_ptr 1
		.amdhsa_user_sgpr_dispatch_id 0
		.amdhsa_user_sgpr_kernarg_preload_length 0
		.amdhsa_user_sgpr_kernarg_preload_offset 0
		.amdhsa_user_sgpr_private_segment_size 0
		.amdhsa_wavefront_size32 1
		.amdhsa_uses_dynamic_stack 0
		.amdhsa_enable_private_segment 0
		.amdhsa_system_sgpr_workgroup_id_x 1
		.amdhsa_system_sgpr_workgroup_id_y 0
		.amdhsa_system_sgpr_workgroup_id_z 0
		.amdhsa_system_sgpr_workgroup_info 0
		.amdhsa_system_vgpr_workitem_id 0
		.amdhsa_next_free_vgpr 58
		.amdhsa_next_free_sgpr 28
		.amdhsa_named_barrier_count 0
		.amdhsa_reserve_vcc 1
		.amdhsa_float_round_mode_32 0
		.amdhsa_float_round_mode_16_64 0
		.amdhsa_float_denorm_mode_32 3
		.amdhsa_float_denorm_mode_16_64 3
		.amdhsa_fp16_overflow 0
		.amdhsa_memory_ordered 1
		.amdhsa_forward_progress 1
		.amdhsa_inst_pref_size 19
		.amdhsa_round_robin_scheduling 0
		.amdhsa_exception_fp_ieee_invalid_op 0
		.amdhsa_exception_fp_denorm_src 0
		.amdhsa_exception_fp_ieee_div_zero 0
		.amdhsa_exception_fp_ieee_overflow 0
		.amdhsa_exception_fp_ieee_underflow 0
		.amdhsa_exception_fp_ieee_inexact 0
		.amdhsa_exception_int_div_zero 0
	.end_amdhsa_kernel
	.section	.text._ZN2at6native12_GLOBAL__N_125multi_tensor_apply_kernelINS1_18TensorListMetadataILi3EEENS1_22TernaryOpScalarFunctorIN3c107complexIdEELi3ELi2ELi2EEEJNS0_11LerpFunctorIS8_EES8_EEEvT_T0_DpT1_,"axG",@progbits,_ZN2at6native12_GLOBAL__N_125multi_tensor_apply_kernelINS1_18TensorListMetadataILi3EEENS1_22TernaryOpScalarFunctorIN3c107complexIdEELi3ELi2ELi2EEEJNS0_11LerpFunctorIS8_EES8_EEEvT_T0_DpT1_,comdat
.Lfunc_end14:
	.size	_ZN2at6native12_GLOBAL__N_125multi_tensor_apply_kernelINS1_18TensorListMetadataILi3EEENS1_22TernaryOpScalarFunctorIN3c107complexIdEELi3ELi2ELi2EEEJNS0_11LerpFunctorIS8_EES8_EEEvT_T0_DpT1_, .Lfunc_end14-_ZN2at6native12_GLOBAL__N_125multi_tensor_apply_kernelINS1_18TensorListMetadataILi3EEENS1_22TernaryOpScalarFunctorIN3c107complexIdEELi3ELi2ELi2EEEJNS0_11LerpFunctorIS8_EES8_EEEvT_T0_DpT1_
                                        ; -- End function
	.set _ZN2at6native12_GLOBAL__N_125multi_tensor_apply_kernelINS1_18TensorListMetadataILi3EEENS1_22TernaryOpScalarFunctorIN3c107complexIdEELi3ELi2ELi2EEEJNS0_11LerpFunctorIS8_EES8_EEEvT_T0_DpT1_.num_vgpr, 58
	.set _ZN2at6native12_GLOBAL__N_125multi_tensor_apply_kernelINS1_18TensorListMetadataILi3EEENS1_22TernaryOpScalarFunctorIN3c107complexIdEELi3ELi2ELi2EEEJNS0_11LerpFunctorIS8_EES8_EEEvT_T0_DpT1_.num_agpr, 0
	.set _ZN2at6native12_GLOBAL__N_125multi_tensor_apply_kernelINS1_18TensorListMetadataILi3EEENS1_22TernaryOpScalarFunctorIN3c107complexIdEELi3ELi2ELi2EEEJNS0_11LerpFunctorIS8_EES8_EEEvT_T0_DpT1_.numbered_sgpr, 28
	.set _ZN2at6native12_GLOBAL__N_125multi_tensor_apply_kernelINS1_18TensorListMetadataILi3EEENS1_22TernaryOpScalarFunctorIN3c107complexIdEELi3ELi2ELi2EEEJNS0_11LerpFunctorIS8_EES8_EEEvT_T0_DpT1_.num_named_barrier, 0
	.set _ZN2at6native12_GLOBAL__N_125multi_tensor_apply_kernelINS1_18TensorListMetadataILi3EEENS1_22TernaryOpScalarFunctorIN3c107complexIdEELi3ELi2ELi2EEEJNS0_11LerpFunctorIS8_EES8_EEEvT_T0_DpT1_.private_seg_size, 0
	.set _ZN2at6native12_GLOBAL__N_125multi_tensor_apply_kernelINS1_18TensorListMetadataILi3EEENS1_22TernaryOpScalarFunctorIN3c107complexIdEELi3ELi2ELi2EEEJNS0_11LerpFunctorIS8_EES8_EEEvT_T0_DpT1_.uses_vcc, 1
	.set _ZN2at6native12_GLOBAL__N_125multi_tensor_apply_kernelINS1_18TensorListMetadataILi3EEENS1_22TernaryOpScalarFunctorIN3c107complexIdEELi3ELi2ELi2EEEJNS0_11LerpFunctorIS8_EES8_EEEvT_T0_DpT1_.uses_flat_scratch, 0
	.set _ZN2at6native12_GLOBAL__N_125multi_tensor_apply_kernelINS1_18TensorListMetadataILi3EEENS1_22TernaryOpScalarFunctorIN3c107complexIdEELi3ELi2ELi2EEEJNS0_11LerpFunctorIS8_EES8_EEEvT_T0_DpT1_.has_dyn_sized_stack, 0
	.set _ZN2at6native12_GLOBAL__N_125multi_tensor_apply_kernelINS1_18TensorListMetadataILi3EEENS1_22TernaryOpScalarFunctorIN3c107complexIdEELi3ELi2ELi2EEEJNS0_11LerpFunctorIS8_EES8_EEEvT_T0_DpT1_.has_recursion, 0
	.set _ZN2at6native12_GLOBAL__N_125multi_tensor_apply_kernelINS1_18TensorListMetadataILi3EEENS1_22TernaryOpScalarFunctorIN3c107complexIdEELi3ELi2ELi2EEEJNS0_11LerpFunctorIS8_EES8_EEEvT_T0_DpT1_.has_indirect_call, 0
	.section	.AMDGPU.csdata,"",@progbits
; Kernel info:
; codeLenInByte = 2404
; TotalNumSgprs: 30
; NumVgprs: 58
; ScratchSize: 0
; MemoryBound: 1
; FloatMode: 240
; IeeeMode: 1
; LDSByteSize: 0 bytes/workgroup (compile time only)
; SGPRBlocks: 0
; VGPRBlocks: 3
; NumSGPRsForWavesPerEU: 30
; NumVGPRsForWavesPerEU: 58
; NamedBarCnt: 0
; Occupancy: 16
; WaveLimiterHint : 0
; COMPUTE_PGM_RSRC2:SCRATCH_EN: 0
; COMPUTE_PGM_RSRC2:USER_SGPR: 2
; COMPUTE_PGM_RSRC2:TRAP_HANDLER: 0
; COMPUTE_PGM_RSRC2:TGID_X_EN: 1
; COMPUTE_PGM_RSRC2:TGID_Y_EN: 0
; COMPUTE_PGM_RSRC2:TGID_Z_EN: 0
; COMPUTE_PGM_RSRC2:TIDIG_COMP_CNT: 0
	.section	.text._ZN2at6native12_GLOBAL__N_125multi_tensor_apply_kernelINS1_18TensorListMetadataILi3EEENS1_22TernaryOpScalarFunctorIN3c107complexIfEELi3ELi2ELi2EEEJNS0_11LerpFunctorIS8_EES8_EEEvT_T0_DpT1_,"axG",@progbits,_ZN2at6native12_GLOBAL__N_125multi_tensor_apply_kernelINS1_18TensorListMetadataILi3EEENS1_22TernaryOpScalarFunctorIN3c107complexIfEELi3ELi2ELi2EEEJNS0_11LerpFunctorIS8_EES8_EEEvT_T0_DpT1_,comdat
	.globl	_ZN2at6native12_GLOBAL__N_125multi_tensor_apply_kernelINS1_18TensorListMetadataILi3EEENS1_22TernaryOpScalarFunctorIN3c107complexIfEELi3ELi2ELi2EEEJNS0_11LerpFunctorIS8_EES8_EEEvT_T0_DpT1_ ; -- Begin function _ZN2at6native12_GLOBAL__N_125multi_tensor_apply_kernelINS1_18TensorListMetadataILi3EEENS1_22TernaryOpScalarFunctorIN3c107complexIfEELi3ELi2ELi2EEEJNS0_11LerpFunctorIS8_EES8_EEEvT_T0_DpT1_
	.p2align	8
	.type	_ZN2at6native12_GLOBAL__N_125multi_tensor_apply_kernelINS1_18TensorListMetadataILi3EEENS1_22TernaryOpScalarFunctorIN3c107complexIfEELi3ELi2ELi2EEEJNS0_11LerpFunctorIS8_EES8_EEEvT_T0_DpT1_,@function
_ZN2at6native12_GLOBAL__N_125multi_tensor_apply_kernelINS1_18TensorListMetadataILi3EEENS1_22TernaryOpScalarFunctorIN3c107complexIfEELi3ELi2ELi2EEEJNS0_11LerpFunctorIS8_EES8_EEEvT_T0_DpT1_: ; @_ZN2at6native12_GLOBAL__N_125multi_tensor_apply_kernelINS1_18TensorListMetadataILi3EEENS1_22TernaryOpScalarFunctorIN3c107complexIfEELi3ELi2ELi2EEEJNS0_11LerpFunctorIS8_EES8_EEEvT_T0_DpT1_
; %bb.0:
	s_bfe_u32 s2, ttmp6, 0x4000c
	s_and_b32 s3, ttmp6, 15
	s_add_co_i32 s2, s2, 1
	s_getreg_b32 s4, hwreg(HW_REG_IB_STS2, 6, 4)
	s_mul_i32 s2, ttmp9, s2
	s_delay_alu instid0(SALU_CYCLE_1) | instskip(SKIP_3) | instid1(SALU_CYCLE_1)
	s_add_co_i32 s2, s3, s2
	s_cmp_eq_u32 s4, 0
	s_mov_b32 s3, 0
	s_cselect_b32 s2, ttmp9, s2
	s_add_nc_u64 s[4:5], s[0:1], s[2:3]
	s_mul_u64 s[6:7], s[2:3], 3
	s_delay_alu instid0(SALU_CYCLE_1)
	s_add_nc_u64 s[4:5], s[4:5], s[6:7]
	s_clause 0x1
	s_load_b32 s8, s[4:5], 0x740
	s_load_u8 s6, s[0:1], s2 offset:0x600
	s_wait_kmcnt 0x0
	s_clause 0x3
	s_load_b64 s[4:5], s[0:1], s6 offset:0x180 scale_offset
	s_load_b64 s[18:19], s[0:1], s6 offset:0x300 scale_offset
	;; [unrolled: 1-line block ×4, first 2 shown]
	s_ashr_i32 s9, s8, 31
	s_wait_xcnt 0x0
	s_lshl_b64 s[6:7], s[8:9], 19
	s_lshl_b64 s[22:23], s[8:9], 16
	s_load_b64 s[8:9], s[0:1], 0xc50
	s_wait_kmcnt 0x0
	s_add_nc_u64 s[12:13], s[4:5], s[6:7]
	s_add_nc_u64 s[14:15], s[18:19], s[6:7]
	;; [unrolled: 1-line block ×3, first 2 shown]
	s_or_b32 s2, s14, s12
	s_and_b64 s[24:25], s[16:17], 31
	s_and_b32 s2, s2, 31
	s_delay_alu instid0(SALU_CYCLE_1) | instskip(SKIP_4) | instid1(SALU_CYCLE_1)
	s_cmp_lg_u32 s2, 0
	s_cselect_b32 s26, -1, 0
	s_and_b32 s2, s10, 3
	s_sub_nc_u64 s[10:11], s[10:11], s[22:23]
	s_or_b64 s[2:3], s[24:25], s[2:3]
	s_cmp_lg_u64 s[2:3], 0
	s_cselect_b32 s2, -1, 0
	s_delay_alu instid0(SALU_CYCLE_1) | instskip(NEXT) | instid1(SALU_CYCLE_1)
	s_or_b32 s2, s26, s2
	s_and_not1_b32 vcc_lo, exec_lo, s2
	s_mov_b32 s2, -1
	s_cbranch_vccz .LBB15_21
; %bb.1:
	v_min_i64 v[22:23], 0x10000, s[10:11]
	v_dual_mov_b32 v25, 0 :: v_dual_lshlrev_b32 v24, 2, v0
	s_mov_b32 s3, exec_lo
	s_delay_alu instid0(VALU_DEP_1)
	v_cmpx_lt_i64_e64 v[24:25], v[22:23]
	s_cbranch_execz .LBB15_20
; %bb.2:
	s_load_b32 s22, s[0:1], 0xc64
	v_mov_b64_e32 v[2:3], s[8:9]
	s_mov_b32 s23, 0
	s_mov_b32 s24, s9
	;; [unrolled: 1-line block ×5, first 2 shown]
	s_delay_alu instid0(VALU_DEP_1) | instskip(SKIP_2) | instid1(VALU_DEP_3)
	v_pk_mul_f32 v[4:5], v[2:3], v[2:3]
	v_mov_b32_e32 v1, v25
	v_pk_add_f32 v[26:27], v[2:3], 1.0 neg_lo:[1,0] neg_hi:[1,0]
	v_dual_lshlrev_b32 v24, 5, v0 :: v_dual_add_f32 v2, v4, v5
	s_delay_alu instid0(VALU_DEP_3) | instskip(NEXT) | instid1(VALU_DEP_3)
	v_mov_b64_e32 v[28:29], v[0:1]
	v_dual_mov_b32 v30, v27 :: v_dual_mov_b32 v31, v26
	s_delay_alu instid0(VALU_DEP_3) | instskip(SKIP_2) | instid1(SALU_CYCLE_1)
	v_cmp_ngt_f32_e64 s2, 0x3e800000, v2
	s_wait_kmcnt 0x0
	s_and_b32 s22, s22, 0xffff
	s_lshl_b32 s26, s22, 5
	s_branch .LBB15_4
.LBB15_3:                               ;   in Loop: Header=BB15_4 Depth=1
	v_add_nc_u64_e32 v[28:29], s[22:23], v[28:29]
	s_add_nc_u64 s[16:17], s[16:17], s[26:27]
	s_add_nc_u64 s[12:13], s[12:13], s[26:27]
	s_delay_alu instid0(VALU_DEP_1) | instskip(NEXT) | instid1(VALU_DEP_1)
	v_lshlrev_b64_e32 v[2:3], 2, v[28:29]
	v_cmp_ge_i64_e32 vcc_lo, v[2:3], v[22:23]
	v_add_nc_u64_e32 v[2:3], s[14:15], v[24:25]
	s_add_nc_u64 s[14:15], s[14:15], s[26:27]
	s_clause 0x1
	global_store_b128 v[2:3], v[6:9], off
	global_store_b128 v[2:3], v[14:17], off offset:16
	s_or_b32 s28, vcc_lo, s28
	s_wait_xcnt 0x0
	s_and_not1_b32 exec_lo, exec_lo, s28
	s_cbranch_execz .LBB15_20
.LBB15_4:                               ; =>This Inner Loop Header: Depth=1
	v_add_nc_u64_e32 v[6:7], s[12:13], v[24:25]
	v_add_nc_u64_e32 v[8:9], s[16:17], v[24:25]
	s_and_b32 vcc_lo, exec_lo, s2
	s_mov_b32 s29, -1
	global_load_b128 v[18:21], v[6:7], off
	s_clause 0x1
	global_load_b128 v[14:17], v[8:9], off
	global_load_b128 v[2:5], v[8:9], off offset:16
	global_load_b128 v[10:13], v[6:7], off offset:16
                                        ; implicit-def: $vgpr6_vgpr7
	s_wait_loadcnt 0x2
	s_wait_xcnt 0x1
	v_pk_add_f32 v[8:9], v[18:19], v[14:15] neg_lo:[0,1] neg_hi:[0,1]
	s_cbranch_vccz .LBB15_8
; %bb.5:                                ;   in Loop: Header=BB15_4 Depth=1
	s_wait_xcnt 0x0
	s_delay_alu instid0(VALU_DEP_1) | instskip(NEXT) | instid1(VALU_DEP_1)
	v_pk_mul_f32 v[6:7], v[30:31], v[8:9] op_sel:[0,1]
	v_pk_fma_f32 v[32:33], v[26:27], v[8:9], v[6:7] op_sel_hi:[1,0,1]
	v_pk_fma_f32 v[6:7], v[26:27], v[8:9], v[6:7] neg_lo:[0,0,1] neg_hi:[0,0,1]
	s_delay_alu instid0(VALU_DEP_2) | instskip(NEXT) | instid1(VALU_DEP_1)
	v_mov_b32_e32 v7, v33
	v_pk_add_f32 v[6:7], v[18:19], v[6:7] neg_lo:[0,1] neg_hi:[0,1]
	s_cbranch_execz .LBB15_9
.LBB15_6:                               ;   in Loop: Header=BB15_4 Depth=1
	v_pk_add_f32 v[14:15], v[20:21], v[16:17] neg_lo:[0,1] neg_hi:[0,1]
	s_and_not1_b32 vcc_lo, exec_lo, s2
	s_mov_b32 s29, -1
	s_cbranch_vccnz .LBB15_10
.LBB15_7:                               ;   in Loop: Header=BB15_4 Depth=1
	s_delay_alu instid0(VALU_DEP_1) | instskip(NEXT) | instid1(VALU_DEP_1)
	v_pk_mul_f32 v[8:9], v[30:31], v[14:15] op_sel:[0,1]
	v_pk_fma_f32 v[18:19], v[26:27], v[14:15], v[8:9] op_sel_hi:[1,0,1]
	v_pk_fma_f32 v[8:9], v[26:27], v[14:15], v[8:9] neg_lo:[0,0,1] neg_hi:[0,0,1]
	s_delay_alu instid0(VALU_DEP_2) | instskip(NEXT) | instid1(VALU_DEP_1)
	v_mov_b32_e32 v9, v19
	v_pk_add_f32 v[8:9], v[20:21], v[8:9] neg_lo:[0,1] neg_hi:[0,1]
	s_cbranch_execnz .LBB15_12
	s_branch .LBB15_11
.LBB15_8:                               ;   in Loop: Header=BB15_4 Depth=1
	s_and_not1_b32 vcc_lo, exec_lo, s29
	s_cbranch_vccnz .LBB15_6
.LBB15_9:                               ;   in Loop: Header=BB15_4 Depth=1
	s_wait_xcnt 0x0
	v_mov_b64_e32 v[6:7], s[24:25]
	v_mov_b64_e32 v[18:19], s[8:9]
	s_delay_alu instid0(VALU_DEP_2) | instskip(NEXT) | instid1(VALU_DEP_1)
	v_pk_mul_f32 v[6:7], v[8:9], v[6:7] op_sel:[1,0]
	v_pk_fma_f32 v[32:33], v[8:9], v[18:19], v[6:7] op_sel_hi:[0,1,1]
	v_pk_fma_f32 v[6:7], v[8:9], v[18:19], v[6:7] neg_lo:[0,0,1] neg_hi:[0,0,1]
	s_delay_alu instid0(VALU_DEP_2) | instskip(NEXT) | instid1(VALU_DEP_1)
	v_mov_b32_e32 v7, v33
	v_pk_add_f32 v[6:7], v[14:15], v[6:7]
	v_pk_add_f32 v[14:15], v[20:21], v[16:17] neg_lo:[0,1] neg_hi:[0,1]
	s_and_not1_b32 vcc_lo, exec_lo, s2
	s_mov_b32 s29, -1
	s_cbranch_vccz .LBB15_7
.LBB15_10:                              ;   in Loop: Header=BB15_4 Depth=1
	s_and_not1_b32 vcc_lo, exec_lo, s29
	s_cbranch_vccnz .LBB15_12
.LBB15_11:                              ;   in Loop: Header=BB15_4 Depth=1
	v_mov_b64_e32 v[8:9], s[24:25]
	v_mov_b64_e32 v[18:19], s[8:9]
	s_delay_alu instid0(VALU_DEP_2) | instskip(NEXT) | instid1(VALU_DEP_1)
	v_pk_mul_f32 v[8:9], v[14:15], v[8:9] op_sel:[1,0]
	v_pk_fma_f32 v[20:21], v[14:15], v[18:19], v[8:9] op_sel_hi:[0,1,1]
	v_pk_fma_f32 v[8:9], v[14:15], v[18:19], v[8:9] neg_lo:[0,0,1] neg_hi:[0,0,1]
	s_delay_alu instid0(VALU_DEP_2) | instskip(NEXT) | instid1(VALU_DEP_1)
	v_mov_b32_e32 v9, v21
	v_pk_add_f32 v[8:9], v[16:17], v[8:9]
.LBB15_12:                              ;   in Loop: Header=BB15_4 Depth=1
	s_wait_loadcnt 0x0
	v_pk_add_f32 v[16:17], v[10:11], v[2:3] neg_lo:[0,1] neg_hi:[0,1]
	s_and_not1_b32 vcc_lo, exec_lo, s2
	s_mov_b32 s29, -1
                                        ; implicit-def: $vgpr14_vgpr15
	s_cbranch_vccnz .LBB15_16
; %bb.13:                               ;   in Loop: Header=BB15_4 Depth=1
	s_delay_alu instid0(VALU_DEP_1) | instskip(NEXT) | instid1(VALU_DEP_1)
	v_pk_mul_f32 v[14:15], v[30:31], v[16:17] op_sel:[0,1]
	v_pk_fma_f32 v[18:19], v[26:27], v[16:17], v[14:15] op_sel_hi:[1,0,1]
	v_pk_fma_f32 v[14:15], v[26:27], v[16:17], v[14:15] neg_lo:[0,0,1] neg_hi:[0,0,1]
	s_delay_alu instid0(VALU_DEP_2) | instskip(NEXT) | instid1(VALU_DEP_1)
	v_mov_b32_e32 v15, v19
	v_pk_add_f32 v[14:15], v[10:11], v[14:15] neg_lo:[0,1] neg_hi:[0,1]
	s_cbranch_execz .LBB15_17
.LBB15_14:                              ;   in Loop: Header=BB15_4 Depth=1
	v_pk_add_f32 v[2:3], v[12:13], v[4:5] neg_lo:[0,1] neg_hi:[0,1]
	s_and_not1_b32 vcc_lo, exec_lo, s2
	s_mov_b32 s29, -1
	s_cbranch_vccnz .LBB15_18
.LBB15_15:                              ;   in Loop: Header=BB15_4 Depth=1
	s_delay_alu instid0(VALU_DEP_1) | instskip(NEXT) | instid1(VALU_DEP_1)
	v_pk_mul_f32 v[10:11], v[30:31], v[2:3] op_sel:[0,1]
	v_pk_fma_f32 v[16:17], v[26:27], v[2:3], v[10:11] op_sel_hi:[1,0,1]
	v_pk_fma_f32 v[10:11], v[26:27], v[2:3], v[10:11] neg_lo:[0,0,1] neg_hi:[0,0,1]
	s_delay_alu instid0(VALU_DEP_2) | instskip(NEXT) | instid1(VALU_DEP_1)
	v_mov_b32_e32 v11, v17
	v_pk_add_f32 v[16:17], v[12:13], v[10:11] neg_lo:[0,1] neg_hi:[0,1]
	s_cbranch_execnz .LBB15_3
	s_branch .LBB15_19
.LBB15_16:                              ;   in Loop: Header=BB15_4 Depth=1
	s_and_not1_b32 vcc_lo, exec_lo, s29
	s_cbranch_vccnz .LBB15_14
.LBB15_17:                              ;   in Loop: Header=BB15_4 Depth=1
	v_mov_b64_e32 v[10:11], s[24:25]
	v_mov_b64_e32 v[14:15], s[8:9]
	s_delay_alu instid0(VALU_DEP_2) | instskip(NEXT) | instid1(VALU_DEP_1)
	v_pk_mul_f32 v[10:11], v[16:17], v[10:11] op_sel:[1,0]
	v_pk_fma_f32 v[18:19], v[16:17], v[14:15], v[10:11] op_sel_hi:[0,1,1]
	v_pk_fma_f32 v[10:11], v[16:17], v[14:15], v[10:11] neg_lo:[0,0,1] neg_hi:[0,0,1]
	s_delay_alu instid0(VALU_DEP_2) | instskip(NEXT) | instid1(VALU_DEP_1)
	v_mov_b32_e32 v11, v19
	v_pk_add_f32 v[14:15], v[2:3], v[10:11]
	v_pk_add_f32 v[2:3], v[12:13], v[4:5] neg_lo:[0,1] neg_hi:[0,1]
	s_and_not1_b32 vcc_lo, exec_lo, s2
	s_mov_b32 s29, -1
	s_cbranch_vccz .LBB15_15
.LBB15_18:                              ;   in Loop: Header=BB15_4 Depth=1
	s_and_not1_b32 vcc_lo, exec_lo, s29
	s_cbranch_vccnz .LBB15_3
.LBB15_19:                              ;   in Loop: Header=BB15_4 Depth=1
	v_mov_b64_e32 v[10:11], s[24:25]
	v_mov_b64_e32 v[12:13], s[8:9]
	s_delay_alu instid0(VALU_DEP_2) | instskip(NEXT) | instid1(VALU_DEP_1)
	v_pk_mul_f32 v[10:11], v[2:3], v[10:11] op_sel:[1,0]
	v_pk_fma_f32 v[16:17], v[2:3], v[12:13], v[10:11] op_sel_hi:[0,1,1]
	v_pk_fma_f32 v[2:3], v[2:3], v[12:13], v[10:11] neg_lo:[0,0,1] neg_hi:[0,0,1]
	s_delay_alu instid0(VALU_DEP_2) | instskip(NEXT) | instid1(VALU_DEP_1)
	v_mov_b32_e32 v3, v17
	v_pk_add_f32 v[16:17], v[4:5], v[2:3]
	s_branch .LBB15_3
.LBB15_20:
	s_or_b32 exec_lo, exec_lo, s3
	s_mov_b32 s2, 0
.LBB15_21:
	s_delay_alu instid0(SALU_CYCLE_1)
	s_and_not1_b32 vcc_lo, exec_lo, s2
	s_cbranch_vccnz .LBB15_57
; %bb.22:
	v_cmp_lt_i64_e64 s2, s[10:11], 1
	s_and_b32 vcc_lo, exec_lo, s2
	s_cbranch_vccnz .LBB15_57
; %bb.23:
	s_load_b32 s0, s[0:1], 0xc64
	v_mov_b64_e32 v[6:7], s[8:9]
	v_min_i64 v[2:3], 0x10000, s[10:11]
	v_min_u64 v[4:5], 0x10000, s[10:11]
	v_dual_mov_b32 v1, 0 :: v_dual_lshlrev_b32 v14, 3, v0
	s_mov_b32 s3, 0
	s_sub_f32 s10, 1.0, s8
	s_delay_alu instid0(VALU_DEP_4) | instskip(NEXT) | instid1(VALU_DEP_2)
	v_pk_mul_f32 v[6:7], v[6:7], v[6:7]
	v_mov_b32_e32 v15, v1
	s_mov_b32 s27, s3
	s_mov_b32 s23, s3
	;; [unrolled: 1-line block ×3, first 2 shown]
	v_add_f32_e32 v12, v6, v7
	v_add_nc_u64_e32 v[6:7], s[4:5], v[14:15]
	v_add_nc_u64_e32 v[8:9], s[20:21], v[14:15]
	;; [unrolled: 1-line block ×3, first 2 shown]
	s_sub_f32 s12, 0, s9
	s_mov_b32 s14, s8
	s_mov_b32 s15, s8
	s_wait_kmcnt 0x0
	s_and_b32 s2, s0, 0xffff
	v_cmp_ngt_f32_e64 s0, 0x3e800000, v12
	v_add_nc_u64_e32 v[12:13], s[2:3], v[0:1]
	v_mad_nc_u64_u32 v[18:19], s2, 24, v[14:15]
	s_lshl_b32 s26, s2, 4
	s_lshl_b32 s22, s2, 1
	v_add_nc_u64_e32 v[26:27], s[26:27], v[14:15]
	s_mul_i32 s24, s2, 3
	v_add_nc_u64_e32 v[28:29], s[22:23], v[0:1]
	v_dual_mov_b32 v35, v1 :: v_dual_lshlrev_b32 v34, 3, v12
	v_add_nc_u64_e32 v[20:21], s[24:25], v[0:1]
	s_mov_b32 s8, s9
	s_delay_alu instid0(VALU_DEP_4)
	v_add_nc_u64_e32 v[22:23], s[4:5], v[26:27]
	v_add_nc_u64_e32 v[14:15], s[4:5], v[18:19]
	;; [unrolled: 1-line block ×9, first 2 shown]
	s_mov_b32 s17, s3
	s_lshl_b32 s16, s2, 2
	s_mov_b32 s11, s10
	s_mov_b32 s13, s12
	s_lshl_b32 s18, s2, 5
	s_mov_b32 s19, s3
	s_mov_b64 s[20:21], 0
	s_branch .LBB15_25
.LBB15_24:                              ;   in Loop: Header=BB15_25 Depth=1
	s_wait_xcnt 0x0
	s_or_b32 exec_lo, exec_lo, s1
	s_add_nc_u64 s[20:21], s[20:21], s[16:17]
	v_add_nc_u64_e32 v[6:7], s[18:19], v[6:7]
	v_cmp_ge_i64_e32 vcc_lo, s[20:21], v[2:3]
	v_add_nc_u64_e32 v[8:9], s[18:19], v[8:9]
	v_add_nc_u64_e32 v[10:11], s[18:19], v[10:11]
	;; [unrolled: 1-line block ×11, first 2 shown]
	s_cbranch_vccnz .LBB15_57
.LBB15_25:                              ; =>This Inner Loop Header: Depth=1
	v_add_nc_u64_e32 v[36:37], s[20:21], v[0:1]
	v_dual_mov_b32 v48, 0 :: v_dual_mov_b32 v49, 0
	v_dual_mov_b32 v52, 0 :: v_dual_mov_b32 v53, 0
	s_delay_alu instid0(VALU_DEP_3)
	v_cmp_lt_u64_e64 s1, v[36:37], v[4:5]
	s_and_saveexec_b32 s2, s1
	s_cbranch_execz .LBB15_27
; %bb.26:                               ;   in Loop: Header=BB15_25 Depth=1
	v_add_nc_u64_e32 v[36:37], s[6:7], v[8:9]
	v_add_nc_u64_e32 v[38:39], s[6:7], v[6:7]
	global_load_b64 v[48:49], v[36:37], off
	global_load_b64 v[52:53], v[38:39], off
.LBB15_27:                              ;   in Loop: Header=BB15_25 Depth=1
	s_wait_xcnt 0x0
	s_or_b32 exec_lo, exec_lo, s2
	v_add_nc_u64_e32 v[38:39], s[20:21], v[12:13]
	v_dual_mov_b32 v36, 0 :: v_dual_mov_b32 v42, 0
	v_dual_mov_b32 v43, 0 :: v_dual_mov_b32 v50, 0
	v_mov_b32_e32 v51, 0
	s_delay_alu instid0(VALU_DEP_4)
	v_cmp_lt_u64_e64 s2, v[38:39], v[4:5]
	s_and_saveexec_b32 s3, s2
	s_cbranch_execz .LBB15_29
; %bb.28:                               ;   in Loop: Header=BB15_25 Depth=1
	v_add_nc_u64_e32 v[38:39], s[6:7], v[32:33]
	v_add_nc_u64_e32 v[40:41], s[6:7], v[30:31]
	global_load_b64 v[42:43], v[38:39], off
	global_load_b64 v[50:51], v[40:41], off
.LBB15_29:                              ;   in Loop: Header=BB15_25 Depth=1
	s_wait_xcnt 0x0
	s_or_b32 exec_lo, exec_lo, s3
	v_add_nc_u64_e32 v[38:39], s[20:21], v[28:29]
	v_dual_mov_b32 v37, 0 :: v_dual_mov_b32 v44, 0
	v_mov_b32_e32 v45, 0
	s_delay_alu instid0(VALU_DEP_3)
	v_cmp_lt_u64_e64 s3, v[38:39], v[4:5]
	s_and_saveexec_b32 s4, s3
	s_cbranch_execz .LBB15_31
; %bb.30:                               ;   in Loop: Header=BB15_25 Depth=1
	v_add_nc_u64_e32 v[38:39], s[6:7], v[24:25]
	v_add_nc_u64_e32 v[40:41], s[6:7], v[22:23]
	global_load_b64 v[36:37], v[38:39], off
	global_load_b64 v[44:45], v[40:41], off
.LBB15_31:                              ;   in Loop: Header=BB15_25 Depth=1
	s_wait_xcnt 0x0
	s_or_b32 exec_lo, exec_lo, s4
	v_add_nc_u64_e32 v[40:41], s[20:21], v[20:21]
	v_mov_b32_e32 v38, 0
	s_delay_alu instid0(VALU_DEP_1) | instskip(NEXT) | instid1(VALU_DEP_3)
	v_mov_b32_e32 v39, v38
	v_cmp_lt_u64_e64 s4, v[40:41], v[4:5]
	v_dual_mov_b32 v40, v38 :: v_dual_mov_b32 v41, v38
	s_and_saveexec_b32 s5, s4
	s_cbranch_execz .LBB15_33
; %bb.32:                               ;   in Loop: Header=BB15_25 Depth=1
	v_add_nc_u64_e32 v[46:47], s[6:7], v[16:17]
	v_add_nc_u64_e32 v[54:55], s[6:7], v[14:15]
	global_load_b64 v[38:39], v[46:47], off
	global_load_b64 v[40:41], v[54:55], off
.LBB15_33:                              ;   in Loop: Header=BB15_25 Depth=1
	s_wait_xcnt 0x0
	s_or_b32 exec_lo, exec_lo, s5
	s_wait_loadcnt 0x0
	v_pk_add_f32 v[54:55], v[52:53], v[48:49] neg_lo:[0,1] neg_hi:[0,1]
	s_and_b32 vcc_lo, exec_lo, s0
	s_mov_b32 s5, -1
                                        ; implicit-def: $vgpr46_vgpr47
	s_cbranch_vccz .LBB15_35
; %bb.34:                               ;   in Loop: Header=BB15_25 Depth=1
	v_mov_b64_e32 v[46:47], s[12:13]
	v_mov_b64_e32 v[56:57], s[10:11]
	s_delay_alu instid0(VALU_DEP_2) | instskip(NEXT) | instid1(VALU_DEP_1)
	v_pk_mul_f32 v[46:47], v[46:47], v[54:55] op_sel:[0,1] op_sel_hi:[1,0]
	v_pk_fma_f32 v[58:59], v[56:57], v[54:55], v[46:47]
	v_pk_fma_f32 v[46:47], v[56:57], v[54:55], v[46:47] neg_lo:[0,0,1] neg_hi:[0,0,1]
	s_delay_alu instid0(VALU_DEP_2) | instskip(NEXT) | instid1(VALU_DEP_1)
	v_mov_b32_e32 v47, v59
	v_pk_add_f32 v[46:47], v[52:53], v[46:47] neg_lo:[0,1] neg_hi:[0,1]
	s_cbranch_execnz .LBB15_37
	s_branch .LBB15_36
.LBB15_35:                              ;   in Loop: Header=BB15_25 Depth=1
	s_and_not1_b32 vcc_lo, exec_lo, s5
	s_cbranch_vccnz .LBB15_37
.LBB15_36:                              ;   in Loop: Header=BB15_25 Depth=1
	v_mov_b64_e32 v[46:47], s[8:9]
	v_mov_b64_e32 v[52:53], s[14:15]
	s_delay_alu instid0(VALU_DEP_2) | instskip(NEXT) | instid1(VALU_DEP_1)
	v_pk_mul_f32 v[46:47], v[54:55], v[46:47] op_sel:[1,0] op_sel_hi:[0,1]
	v_pk_fma_f32 v[56:57], v[54:55], v[52:53], v[46:47]
	v_pk_fma_f32 v[46:47], v[54:55], v[52:53], v[46:47] neg_lo:[0,0,1] neg_hi:[0,0,1]
	s_delay_alu instid0(VALU_DEP_2) | instskip(NEXT) | instid1(VALU_DEP_1)
	v_mov_b32_e32 v47, v57
	v_pk_add_f32 v[46:47], v[48:49], v[46:47]
.LBB15_37:                              ;   in Loop: Header=BB15_25 Depth=1
	v_pk_add_f32 v[52:53], v[50:51], v[42:43] neg_lo:[0,1] neg_hi:[0,1]
	s_and_not1_b32 vcc_lo, exec_lo, s0
	s_mov_b32 s5, -1
                                        ; implicit-def: $vgpr48_vgpr49
	s_cbranch_vccnz .LBB15_39
; %bb.38:                               ;   in Loop: Header=BB15_25 Depth=1
	v_mov_b64_e32 v[48:49], s[12:13]
	v_mov_b64_e32 v[54:55], s[10:11]
	s_delay_alu instid0(VALU_DEP_2) | instskip(NEXT) | instid1(VALU_DEP_1)
	v_pk_mul_f32 v[48:49], v[48:49], v[52:53] op_sel:[0,1] op_sel_hi:[1,0]
	v_pk_fma_f32 v[56:57], v[54:55], v[52:53], v[48:49]
	v_pk_fma_f32 v[48:49], v[54:55], v[52:53], v[48:49] neg_lo:[0,0,1] neg_hi:[0,0,1]
	s_delay_alu instid0(VALU_DEP_2) | instskip(NEXT) | instid1(VALU_DEP_1)
	v_mov_b32_e32 v49, v57
	v_pk_add_f32 v[48:49], v[50:51], v[48:49] neg_lo:[0,1] neg_hi:[0,1]
	s_cbranch_execnz .LBB15_41
	s_branch .LBB15_40
.LBB15_39:                              ;   in Loop: Header=BB15_25 Depth=1
	s_and_not1_b32 vcc_lo, exec_lo, s5
	s_cbranch_vccnz .LBB15_41
.LBB15_40:                              ;   in Loop: Header=BB15_25 Depth=1
	v_mov_b64_e32 v[48:49], s[8:9]
	v_mov_b64_e32 v[50:51], s[14:15]
	s_delay_alu instid0(VALU_DEP_2) | instskip(NEXT) | instid1(VALU_DEP_1)
	v_pk_mul_f32 v[48:49], v[52:53], v[48:49] op_sel:[1,0] op_sel_hi:[0,1]
	v_pk_fma_f32 v[54:55], v[52:53], v[50:51], v[48:49]
	v_pk_fma_f32 v[48:49], v[52:53], v[50:51], v[48:49] neg_lo:[0,0,1] neg_hi:[0,0,1]
	s_delay_alu instid0(VALU_DEP_2) | instskip(NEXT) | instid1(VALU_DEP_1)
	v_mov_b32_e32 v49, v55
	v_pk_add_f32 v[48:49], v[42:43], v[48:49]
.LBB15_41:                              ;   in Loop: Header=BB15_25 Depth=1
	v_pk_add_f32 v[50:51], v[44:45], v[36:37] neg_lo:[0,1] neg_hi:[0,1]
	s_and_not1_b32 vcc_lo, exec_lo, s0
	s_mov_b32 s5, -1
                                        ; implicit-def: $vgpr42_vgpr43
	s_cbranch_vccnz .LBB15_43
; %bb.42:                               ;   in Loop: Header=BB15_25 Depth=1
	v_mov_b64_e32 v[42:43], s[12:13]
	v_mov_b64_e32 v[52:53], s[10:11]
	s_delay_alu instid0(VALU_DEP_2) | instskip(NEXT) | instid1(VALU_DEP_1)
	v_pk_mul_f32 v[42:43], v[42:43], v[50:51] op_sel:[0,1] op_sel_hi:[1,0]
	v_pk_fma_f32 v[54:55], v[52:53], v[50:51], v[42:43]
	v_pk_fma_f32 v[42:43], v[52:53], v[50:51], v[42:43] neg_lo:[0,0,1] neg_hi:[0,0,1]
	s_delay_alu instid0(VALU_DEP_2) | instskip(NEXT) | instid1(VALU_DEP_1)
	v_mov_b32_e32 v43, v55
	v_pk_add_f32 v[42:43], v[44:45], v[42:43] neg_lo:[0,1] neg_hi:[0,1]
	s_cbranch_execnz .LBB15_45
	s_branch .LBB15_44
.LBB15_43:                              ;   in Loop: Header=BB15_25 Depth=1
	s_and_not1_b32 vcc_lo, exec_lo, s5
	s_cbranch_vccnz .LBB15_45
.LBB15_44:                              ;   in Loop: Header=BB15_25 Depth=1
	v_mov_b64_e32 v[42:43], s[8:9]
	v_mov_b64_e32 v[44:45], s[14:15]
	s_delay_alu instid0(VALU_DEP_2) | instskip(NEXT) | instid1(VALU_DEP_1)
	v_pk_mul_f32 v[42:43], v[50:51], v[42:43] op_sel:[1,0] op_sel_hi:[0,1]
	v_pk_fma_f32 v[52:53], v[50:51], v[44:45], v[42:43]
	v_pk_fma_f32 v[42:43], v[50:51], v[44:45], v[42:43] neg_lo:[0,0,1] neg_hi:[0,0,1]
	s_delay_alu instid0(VALU_DEP_2) | instskip(NEXT) | instid1(VALU_DEP_1)
	v_mov_b32_e32 v43, v53
	v_pk_add_f32 v[42:43], v[36:37], v[42:43]
.LBB15_45:                              ;   in Loop: Header=BB15_25 Depth=1
	v_pk_add_f32 v[44:45], v[40:41], v[38:39] neg_lo:[0,1] neg_hi:[0,1]
	s_and_not1_b32 vcc_lo, exec_lo, s0
	s_mov_b32 s5, -1
                                        ; implicit-def: $vgpr36_vgpr37
	s_cbranch_vccnz .LBB15_51
; %bb.46:                               ;   in Loop: Header=BB15_25 Depth=1
	v_mov_b64_e32 v[36:37], s[12:13]
	v_mov_b64_e32 v[50:51], s[10:11]
	s_delay_alu instid0(VALU_DEP_2) | instskip(NEXT) | instid1(VALU_DEP_1)
	v_pk_mul_f32 v[36:37], v[36:37], v[44:45] op_sel:[0,1] op_sel_hi:[1,0]
	v_pk_fma_f32 v[52:53], v[50:51], v[44:45], v[36:37]
	v_pk_fma_f32 v[36:37], v[50:51], v[44:45], v[36:37] neg_lo:[0,0,1] neg_hi:[0,0,1]
	s_delay_alu instid0(VALU_DEP_2) | instskip(NEXT) | instid1(VALU_DEP_1)
	v_mov_b32_e32 v37, v53
	v_pk_add_f32 v[36:37], v[40:41], v[36:37] neg_lo:[0,1] neg_hi:[0,1]
	s_cbranch_execz .LBB15_52
.LBB15_47:                              ;   in Loop: Header=BB15_25 Depth=1
	s_and_saveexec_b32 s5, s1
	s_delay_alu instid0(SALU_CYCLE_1)
	s_xor_b32 s1, exec_lo, s5
	s_cbranch_execz .LBB15_53
.LBB15_48:                              ;   in Loop: Header=BB15_25 Depth=1
	v_add_nc_u64_e32 v[38:39], s[6:7], v[10:11]
	global_store_b64 v[38:39], v[46:47], off
	s_wait_xcnt 0x0
	s_or_b32 exec_lo, exec_lo, s1
	s_and_saveexec_b32 s1, s2
	s_cbranch_execnz .LBB15_54
.LBB15_49:                              ;   in Loop: Header=BB15_25 Depth=1
	s_or_b32 exec_lo, exec_lo, s1
	s_and_saveexec_b32 s1, s3
	s_cbranch_execz .LBB15_55
.LBB15_50:                              ;   in Loop: Header=BB15_25 Depth=1
	v_add_nc_u64_e32 v[38:39], s[6:7], v[26:27]
	global_store_b64 v[38:39], v[42:43], off
	s_wait_xcnt 0x0
	s_or_b32 exec_lo, exec_lo, s1
	s_and_saveexec_b32 s1, s4
	s_cbranch_execz .LBB15_24
	s_branch .LBB15_56
.LBB15_51:                              ;   in Loop: Header=BB15_25 Depth=1
	s_and_not1_b32 vcc_lo, exec_lo, s5
	s_cbranch_vccnz .LBB15_47
.LBB15_52:                              ;   in Loop: Header=BB15_25 Depth=1
	v_mov_b64_e32 v[36:37], s[8:9]
	v_mov_b64_e32 v[40:41], s[14:15]
	s_delay_alu instid0(VALU_DEP_2) | instskip(NEXT) | instid1(VALU_DEP_1)
	v_pk_mul_f32 v[36:37], v[44:45], v[36:37] op_sel:[1,0] op_sel_hi:[0,1]
	v_pk_fma_f32 v[50:51], v[44:45], v[40:41], v[36:37]
	v_pk_fma_f32 v[36:37], v[44:45], v[40:41], v[36:37] neg_lo:[0,0,1] neg_hi:[0,0,1]
	s_delay_alu instid0(VALU_DEP_2) | instskip(NEXT) | instid1(VALU_DEP_1)
	v_mov_b32_e32 v37, v51
	v_pk_add_f32 v[36:37], v[38:39], v[36:37]
	s_and_saveexec_b32 s5, s1
	s_delay_alu instid0(SALU_CYCLE_1)
	s_xor_b32 s1, exec_lo, s5
	s_cbranch_execnz .LBB15_48
.LBB15_53:                              ;   in Loop: Header=BB15_25 Depth=1
	s_or_b32 exec_lo, exec_lo, s1
	s_and_saveexec_b32 s1, s2
	s_cbranch_execz .LBB15_49
.LBB15_54:                              ;   in Loop: Header=BB15_25 Depth=1
	v_add_nc_u64_e32 v[38:39], s[6:7], v[34:35]
	global_store_b64 v[38:39], v[48:49], off
	s_wait_xcnt 0x0
	s_or_b32 exec_lo, exec_lo, s1
	s_and_saveexec_b32 s1, s3
	s_cbranch_execnz .LBB15_50
.LBB15_55:                              ;   in Loop: Header=BB15_25 Depth=1
	s_or_b32 exec_lo, exec_lo, s1
	s_and_saveexec_b32 s1, s4
	s_cbranch_execz .LBB15_24
.LBB15_56:                              ;   in Loop: Header=BB15_25 Depth=1
	v_add_nc_u64_e32 v[38:39], s[6:7], v[18:19]
	global_store_b64 v[38:39], v[36:37], off
	s_branch .LBB15_24
.LBB15_57:
	s_endpgm
	.section	.rodata,"a",@progbits
	.p2align	6, 0x0
	.amdhsa_kernel _ZN2at6native12_GLOBAL__N_125multi_tensor_apply_kernelINS1_18TensorListMetadataILi3EEENS1_22TernaryOpScalarFunctorIN3c107complexIfEELi3ELi2ELi2EEEJNS0_11LerpFunctorIS8_EES8_EEEvT_T0_DpT1_
		.amdhsa_group_segment_fixed_size 0
		.amdhsa_private_segment_fixed_size 0
		.amdhsa_kernarg_size 3416
		.amdhsa_user_sgpr_count 2
		.amdhsa_user_sgpr_dispatch_ptr 0
		.amdhsa_user_sgpr_queue_ptr 0
		.amdhsa_user_sgpr_kernarg_segment_ptr 1
		.amdhsa_user_sgpr_dispatch_id 0
		.amdhsa_user_sgpr_kernarg_preload_length 0
		.amdhsa_user_sgpr_kernarg_preload_offset 0
		.amdhsa_user_sgpr_private_segment_size 0
		.amdhsa_wavefront_size32 1
		.amdhsa_uses_dynamic_stack 0
		.amdhsa_enable_private_segment 0
		.amdhsa_system_sgpr_workgroup_id_x 1
		.amdhsa_system_sgpr_workgroup_id_y 0
		.amdhsa_system_sgpr_workgroup_id_z 0
		.amdhsa_system_sgpr_workgroup_info 0
		.amdhsa_system_vgpr_workitem_id 0
		.amdhsa_next_free_vgpr 60
		.amdhsa_next_free_sgpr 30
		.amdhsa_named_barrier_count 0
		.amdhsa_reserve_vcc 1
		.amdhsa_float_round_mode_32 0
		.amdhsa_float_round_mode_16_64 0
		.amdhsa_float_denorm_mode_32 3
		.amdhsa_float_denorm_mode_16_64 3
		.amdhsa_fp16_overflow 0
		.amdhsa_memory_ordered 1
		.amdhsa_forward_progress 1
		.amdhsa_inst_pref_size 20
		.amdhsa_round_robin_scheduling 0
		.amdhsa_exception_fp_ieee_invalid_op 0
		.amdhsa_exception_fp_denorm_src 0
		.amdhsa_exception_fp_ieee_div_zero 0
		.amdhsa_exception_fp_ieee_overflow 0
		.amdhsa_exception_fp_ieee_underflow 0
		.amdhsa_exception_fp_ieee_inexact 0
		.amdhsa_exception_int_div_zero 0
	.end_amdhsa_kernel
	.section	.text._ZN2at6native12_GLOBAL__N_125multi_tensor_apply_kernelINS1_18TensorListMetadataILi3EEENS1_22TernaryOpScalarFunctorIN3c107complexIfEELi3ELi2ELi2EEEJNS0_11LerpFunctorIS8_EES8_EEEvT_T0_DpT1_,"axG",@progbits,_ZN2at6native12_GLOBAL__N_125multi_tensor_apply_kernelINS1_18TensorListMetadataILi3EEENS1_22TernaryOpScalarFunctorIN3c107complexIfEELi3ELi2ELi2EEEJNS0_11LerpFunctorIS8_EES8_EEEvT_T0_DpT1_,comdat
.Lfunc_end15:
	.size	_ZN2at6native12_GLOBAL__N_125multi_tensor_apply_kernelINS1_18TensorListMetadataILi3EEENS1_22TernaryOpScalarFunctorIN3c107complexIfEELi3ELi2ELi2EEEJNS0_11LerpFunctorIS8_EES8_EEEvT_T0_DpT1_, .Lfunc_end15-_ZN2at6native12_GLOBAL__N_125multi_tensor_apply_kernelINS1_18TensorListMetadataILi3EEENS1_22TernaryOpScalarFunctorIN3c107complexIfEELi3ELi2ELi2EEEJNS0_11LerpFunctorIS8_EES8_EEEvT_T0_DpT1_
                                        ; -- End function
	.set _ZN2at6native12_GLOBAL__N_125multi_tensor_apply_kernelINS1_18TensorListMetadataILi3EEENS1_22TernaryOpScalarFunctorIN3c107complexIfEELi3ELi2ELi2EEEJNS0_11LerpFunctorIS8_EES8_EEEvT_T0_DpT1_.num_vgpr, 60
	.set _ZN2at6native12_GLOBAL__N_125multi_tensor_apply_kernelINS1_18TensorListMetadataILi3EEENS1_22TernaryOpScalarFunctorIN3c107complexIfEELi3ELi2ELi2EEEJNS0_11LerpFunctorIS8_EES8_EEEvT_T0_DpT1_.num_agpr, 0
	.set _ZN2at6native12_GLOBAL__N_125multi_tensor_apply_kernelINS1_18TensorListMetadataILi3EEENS1_22TernaryOpScalarFunctorIN3c107complexIfEELi3ELi2ELi2EEEJNS0_11LerpFunctorIS8_EES8_EEEvT_T0_DpT1_.numbered_sgpr, 30
	.set _ZN2at6native12_GLOBAL__N_125multi_tensor_apply_kernelINS1_18TensorListMetadataILi3EEENS1_22TernaryOpScalarFunctorIN3c107complexIfEELi3ELi2ELi2EEEJNS0_11LerpFunctorIS8_EES8_EEEvT_T0_DpT1_.num_named_barrier, 0
	.set _ZN2at6native12_GLOBAL__N_125multi_tensor_apply_kernelINS1_18TensorListMetadataILi3EEENS1_22TernaryOpScalarFunctorIN3c107complexIfEELi3ELi2ELi2EEEJNS0_11LerpFunctorIS8_EES8_EEEvT_T0_DpT1_.private_seg_size, 0
	.set _ZN2at6native12_GLOBAL__N_125multi_tensor_apply_kernelINS1_18TensorListMetadataILi3EEENS1_22TernaryOpScalarFunctorIN3c107complexIfEELi3ELi2ELi2EEEJNS0_11LerpFunctorIS8_EES8_EEEvT_T0_DpT1_.uses_vcc, 1
	.set _ZN2at6native12_GLOBAL__N_125multi_tensor_apply_kernelINS1_18TensorListMetadataILi3EEENS1_22TernaryOpScalarFunctorIN3c107complexIfEELi3ELi2ELi2EEEJNS0_11LerpFunctorIS8_EES8_EEEvT_T0_DpT1_.uses_flat_scratch, 0
	.set _ZN2at6native12_GLOBAL__N_125multi_tensor_apply_kernelINS1_18TensorListMetadataILi3EEENS1_22TernaryOpScalarFunctorIN3c107complexIfEELi3ELi2ELi2EEEJNS0_11LerpFunctorIS8_EES8_EEEvT_T0_DpT1_.has_dyn_sized_stack, 0
	.set _ZN2at6native12_GLOBAL__N_125multi_tensor_apply_kernelINS1_18TensorListMetadataILi3EEENS1_22TernaryOpScalarFunctorIN3c107complexIfEELi3ELi2ELi2EEEJNS0_11LerpFunctorIS8_EES8_EEEvT_T0_DpT1_.has_recursion, 0
	.set _ZN2at6native12_GLOBAL__N_125multi_tensor_apply_kernelINS1_18TensorListMetadataILi3EEENS1_22TernaryOpScalarFunctorIN3c107complexIfEELi3ELi2ELi2EEEJNS0_11LerpFunctorIS8_EES8_EEEvT_T0_DpT1_.has_indirect_call, 0
	.section	.AMDGPU.csdata,"",@progbits
; Kernel info:
; codeLenInByte = 2536
; TotalNumSgprs: 32
; NumVgprs: 60
; ScratchSize: 0
; MemoryBound: 1
; FloatMode: 240
; IeeeMode: 1
; LDSByteSize: 0 bytes/workgroup (compile time only)
; SGPRBlocks: 0
; VGPRBlocks: 3
; NumSGPRsForWavesPerEU: 32
; NumVGPRsForWavesPerEU: 60
; NamedBarCnt: 0
; Occupancy: 16
; WaveLimiterHint : 0
; COMPUTE_PGM_RSRC2:SCRATCH_EN: 0
; COMPUTE_PGM_RSRC2:USER_SGPR: 2
; COMPUTE_PGM_RSRC2:TRAP_HANDLER: 0
; COMPUTE_PGM_RSRC2:TGID_X_EN: 1
; COMPUTE_PGM_RSRC2:TGID_Y_EN: 0
; COMPUTE_PGM_RSRC2:TGID_Z_EN: 0
; COMPUTE_PGM_RSRC2:TIDIG_COMP_CNT: 0
	.section	.text._ZN2at6native12_GLOBAL__N_125multi_tensor_apply_kernelINS1_18TensorListMetadataILi3EEENS1_22TernaryOpScalarFunctorIN3c104HalfELi3ELi2ELi2EEEJNS0_11LerpFunctorIfEEfEEEvT_T0_DpT1_,"axG",@progbits,_ZN2at6native12_GLOBAL__N_125multi_tensor_apply_kernelINS1_18TensorListMetadataILi3EEENS1_22TernaryOpScalarFunctorIN3c104HalfELi3ELi2ELi2EEEJNS0_11LerpFunctorIfEEfEEEvT_T0_DpT1_,comdat
	.globl	_ZN2at6native12_GLOBAL__N_125multi_tensor_apply_kernelINS1_18TensorListMetadataILi3EEENS1_22TernaryOpScalarFunctorIN3c104HalfELi3ELi2ELi2EEEJNS0_11LerpFunctorIfEEfEEEvT_T0_DpT1_ ; -- Begin function _ZN2at6native12_GLOBAL__N_125multi_tensor_apply_kernelINS1_18TensorListMetadataILi3EEENS1_22TernaryOpScalarFunctorIN3c104HalfELi3ELi2ELi2EEEJNS0_11LerpFunctorIfEEfEEEvT_T0_DpT1_
	.p2align	8
	.type	_ZN2at6native12_GLOBAL__N_125multi_tensor_apply_kernelINS1_18TensorListMetadataILi3EEENS1_22TernaryOpScalarFunctorIN3c104HalfELi3ELi2ELi2EEEJNS0_11LerpFunctorIfEEfEEEvT_T0_DpT1_,@function
_ZN2at6native12_GLOBAL__N_125multi_tensor_apply_kernelINS1_18TensorListMetadataILi3EEENS1_22TernaryOpScalarFunctorIN3c104HalfELi3ELi2ELi2EEEJNS0_11LerpFunctorIfEEfEEEvT_T0_DpT1_: ; @_ZN2at6native12_GLOBAL__N_125multi_tensor_apply_kernelINS1_18TensorListMetadataILi3EEENS1_22TernaryOpScalarFunctorIN3c104HalfELi3ELi2ELi2EEEJNS0_11LerpFunctorIfEEfEEEvT_T0_DpT1_
; %bb.0:
	s_bfe_u32 s2, ttmp6, 0x4000c
	s_and_b32 s3, ttmp6, 15
	s_add_co_i32 s2, s2, 1
	s_getreg_b32 s4, hwreg(HW_REG_IB_STS2, 6, 4)
	s_mul_i32 s2, ttmp9, s2
	s_delay_alu instid0(SALU_CYCLE_1) | instskip(SKIP_3) | instid1(SALU_CYCLE_1)
	s_add_co_i32 s2, s3, s2
	s_cmp_eq_u32 s4, 0
	s_mov_b32 s3, 0
	s_cselect_b32 s2, ttmp9, s2
	s_add_nc_u64 s[4:5], s[0:1], s[2:3]
	s_mul_u64 s[6:7], s[2:3], 3
	s_delay_alu instid0(SALU_CYCLE_1)
	s_add_nc_u64 s[4:5], s[4:5], s[6:7]
	s_clause 0x1
	s_load_b32 s12, s[4:5], 0x740
	s_load_u8 s6, s[0:1], s2 offset:0x600
	s_wait_kmcnt 0x0
	s_clause 0x3
	s_load_b64 s[8:9], s[0:1], s6 offset:0x180 scale_offset
	s_load_b64 s[10:11], s[0:1], s6 offset:0x300 scale_offset
	;; [unrolled: 1-line block ×4, first 2 shown]
	s_ashr_i32 s13, s12, 31
	s_delay_alu instid0(SALU_CYCLE_1) | instskip(SKIP_2) | instid1(SALU_CYCLE_1)
	s_lshl_b64 s[4:5], s[12:13], 17
	s_wait_kmcnt 0x0
	s_add_nc_u64 s[6:7], s[8:9], s[4:5]
	s_or_b32 s2, s10, s6
	s_load_b32 s6, s[0:1], 0xc4c
	s_and_b32 s2, s2, 7
	s_and_b64 s[18:19], s[14:15], 7
	s_cmp_lg_u32 s2, 0
	s_cselect_b32 s7, -1, 0
	s_and_b32 s2, s16, 3
	s_lshl_b64 s[12:13], s[12:13], 16
	s_or_b64 s[2:3], s[18:19], s[2:3]
	s_sub_nc_u64 s[12:13], s[16:17], s[12:13]
	s_cmp_lg_u64 s[2:3], 0
	s_cselect_b32 s2, -1, 0
	s_delay_alu instid0(SALU_CYCLE_1) | instskip(NEXT) | instid1(SALU_CYCLE_1)
	s_or_b32 s2, s7, s2
	s_and_not1_b32 vcc_lo, exec_lo, s2
	s_mov_b32 s2, -1
	s_cbranch_vccz .LBB16_5
; %bb.1:
	v_min_i64 v[2:3], 0x10000, s[12:13]
	v_dual_mov_b32 v9, 0 :: v_dual_lshlrev_b32 v8, 2, v0
	s_mov_b32 s3, exec_lo
	s_delay_alu instid0(VALU_DEP_1)
	v_cmpx_lt_i64_e64 v[8:9], v[2:3]
	s_cbranch_execz .LBB16_4
; %bb.2:
	s_load_b32 s2, s[0:1], 0xc5c
	s_wait_kmcnt 0x0
	s_and_b32 s16, s6, 0x7fffffff
	s_sub_f32 s18, 1.0, s6
	v_dual_mov_b32 v1, v9 :: v_dual_lshlrev_b32 v8, 3, v0
	s_cmp_lt_f32 s16, 0.5
	s_mov_b32 s7, s6
	s_mov_b32 s19, s18
	v_mov_b64_e32 v[6:7], s[6:7]
	v_add_nc_u64_e32 v[8:9], s[4:5], v[8:9]
	s_cselect_b32 vcc_lo, -1, 0
	s_xor_b32 s20, s18, 0x80000000
	s_xor_b32 s7, s18, 0x80000000
	v_mov_b64_e32 v[12:13], s[18:19]
	v_mov_b64_e32 v[14:15], v[0:1]
	v_dual_mov_b32 v4, s6 :: v_dual_mov_b32 v5, s6
	v_dual_mov_b32 v10, s7 :: v_dual_mov_b32 v11, s20
	s_mov_b32 s17, 0
	s_and_b32 s16, s2, 0xffff
	s_mov_b32 s19, s17
	s_lshl_b32 s18, s16, 3
	s_mov_b32 s7, s17
.LBB16_3:                               ; =>This Inner Loop Header: Depth=1
	v_add_nc_u64_e32 v[16:17], s[14:15], v[8:9]
	v_add_nc_u64_e32 v[18:19], s[8:9], v[8:9]
	;; [unrolled: 1-line block ×3, first 2 shown]
	global_load_b64 v[20:21], v[16:17], off
	global_load_b64 v[22:23], v[18:19], off
	s_wait_xcnt 0x1
	v_lshlrev_b64_e32 v[16:17], 2, v[14:15]
	s_delay_alu instid0(VALU_DEP_1)
	v_cmp_ge_i64_e64 s2, v[16:17], v[2:3]
	v_add_nc_u64_e32 v[16:17], s[10:11], v[8:9]
	v_add_nc_u64_e32 v[8:9], s[18:19], v[8:9]
	s_or_b32 s7, s2, s7
	s_wait_loadcnt 0x1
	v_lshrrev_b32_e32 v1, 16, v21
	s_wait_xcnt 0x0
	v_cvt_f32_f16_e32 v18, v21
	s_wait_loadcnt 0x0
	v_dual_lshrrev_b32 v21, 16, v20 :: v_dual_lshrrev_b32 v25, 16, v23
	v_cvt_f32_f16_e32 v24, v23
	v_lshrrev_b32_e32 v23, 16, v22
	v_cvt_f32_f16_e32 v20, v20
	v_cvt_f32_f16_e32 v22, v22
	;; [unrolled: 1-line block ×6, first 2 shown]
	v_dual_sub_f32 v26, v22, v20 :: v_dual_sub_f32 v28, v24, v18
	s_delay_alu instid0(VALU_DEP_2) | instskip(NEXT) | instid1(VALU_DEP_1)
	v_dual_sub_f32 v29, v25, v19 :: v_dual_sub_f32 v27, v23, v21
	v_pk_fma_f32 v[18:19], v[4:5], v[28:29], v[18:19]
	s_delay_alu instid0(VALU_DEP_2) | instskip(SKIP_2) | instid1(VALU_DEP_1)
	v_pk_fma_f32 v[20:21], v[6:7], v[26:27], v[20:21]
	v_pk_fma_f32 v[22:23], v[12:13], v[26:27], v[22:23] neg_lo:[1,0,0] neg_hi:[1,0,0]
	v_pk_fma_f32 v[24:25], v[10:11], v[28:29], v[24:25]
	v_dual_cndmask_b32 v1, v23, v21, vcc_lo :: v_dual_cndmask_b32 v19, v25, v19, vcc_lo
	s_delay_alu instid0(VALU_DEP_2) | instskip(NEXT) | instid1(VALU_DEP_1)
	v_dual_cndmask_b32 v18, v24, v18, vcc_lo :: v_dual_cndmask_b32 v20, v22, v20, vcc_lo
	v_cvt_pk_f16_f32 v19, v18, v19
	s_delay_alu instid0(VALU_DEP_2)
	v_cvt_pk_f16_f32 v18, v20, v1
	global_store_b64 v[16:17], v[18:19], off
	s_wait_xcnt 0x0
	s_and_not1_b32 exec_lo, exec_lo, s7
	s_cbranch_execnz .LBB16_3
.LBB16_4:
	s_or_b32 exec_lo, exec_lo, s3
	s_mov_b32 s2, 0
.LBB16_5:
	s_delay_alu instid0(SALU_CYCLE_1)
	s_and_not1_b32 vcc_lo, exec_lo, s2
	s_cbranch_vccnz .LBB16_25
; %bb.6:
	v_cmp_lt_i64_e64 s2, s[12:13], 1
	s_and_b32 vcc_lo, exec_lo, s2
	s_cbranch_vccnz .LBB16_25
; %bb.7:
	s_wait_xcnt 0x0
	s_load_b32 s0, s[0:1], 0xc5c
	v_min_i64 v[2:3], 0x10000, s[12:13]
	v_min_u64 v[4:5], 0x10000, s[12:13]
	v_dual_mov_b32 v1, 0 :: v_dual_lshlrev_b32 v16, 1, v0
	s_wait_kmcnt 0x0
	s_and_b32 s1, s6, 0x7fffffff
	s_mov_b32 s3, 0
	s_sub_f32 s7, 1.0, s6
	v_dual_mov_b32 v17, v1 :: v_dual_mov_b32 v35, v1
	s_mov_b32 s13, s3
	s_mov_b32 s17, s3
	;; [unrolled: 1-line block ×3, first 2 shown]
	s_delay_alu instid0(VALU_DEP_1) | instskip(SKIP_3) | instid1(SALU_CYCLE_1)
	v_add_nc_u64_e32 v[6:7], s[14:15], v[16:17]
	v_add_nc_u64_e32 v[8:9], s[8:9], v[16:17]
	v_add_nc_u64_e32 v[12:13], s[10:11], v[16:17]
	s_and_b32 s2, s0, 0xffff
	s_lshl_b32 s16, s2, 1
	s_cmp_lt_f32 s1, 0.5
	v_add_nc_u64_e32 v[10:11], s[2:3], v[0:1]
	v_mad_nc_u64_u32 v[22:23], s2, 6, v[16:17]
	s_mul_i32 s18, s2, 3
	s_cselect_b32 s0, -1, 0
	s_lshl_b32 s12, s2, 2
	v_add_nc_u64_e32 v[14:15], s[18:19], v[0:1]
	v_add_nc_u64_e32 v[32:33], s[12:13], v[16:17]
	v_lshlrev_b32_e32 v34, 1, v10
	v_add_nc_u64_e32 v[16:17], s[16:17], v[0:1]
	v_add_nc_u64_e32 v[18:19], s[14:15], v[22:23]
	;; [unrolled: 1-line block ×10, first 2 shown]
	s_lshl_b32 s8, s2, 3
	s_mov_b32 s9, s3
	s_mov_b64 s[10:11], 0
	s_branch .LBB16_9
.LBB16_8:                               ;   in Loop: Header=BB16_9 Depth=1
	s_wait_xcnt 0x0
	s_or_b32 exec_lo, exec_lo, s1
	s_add_nc_u64 s[10:11], s[10:11], s[12:13]
	v_add_nc_u64_e32 v[6:7], s[8:9], v[6:7]
	v_cmp_ge_i64_e32 vcc_lo, s[10:11], v[2:3]
	v_add_nc_u64_e32 v[8:9], s[8:9], v[8:9]
	v_add_nc_u64_e32 v[12:13], s[8:9], v[12:13]
	;; [unrolled: 1-line block ×11, first 2 shown]
	s_cbranch_vccnz .LBB16_25
.LBB16_9:                               ; =>This Inner Loop Header: Depth=1
	v_add_nc_u64_e32 v[36:37], s[10:11], v[0:1]
	v_mov_b32_e32 v38, 0
	s_delay_alu instid0(VALU_DEP_2)
	v_cmp_lt_u64_e32 vcc_lo, v[36:37], v[4:5]
	v_mov_b32_e32 v37, 0
	s_and_saveexec_b32 s1, vcc_lo
	s_cbranch_execz .LBB16_11
; %bb.10:                               ;   in Loop: Header=BB16_9 Depth=1
	v_add_nc_u64_e32 v[36:37], s[4:5], v[6:7]
	v_add_nc_u64_e32 v[38:39], s[4:5], v[8:9]
	global_load_u16 v40, v[36:37], off
	global_load_u16 v41, v[38:39], off
	s_wait_loadcnt 0x1
	s_wait_xcnt 0x1
	v_cvt_f32_f16_e32 v37, v40
	s_wait_loadcnt 0x0
	v_cvt_f32_f16_e32 v38, v41
.LBB16_11:                              ;   in Loop: Header=BB16_9 Depth=1
	s_or_b32 exec_lo, exec_lo, s1
	v_add_nc_u64_e32 v[40:41], s[10:11], v[10:11]
	v_dual_mov_b32 v36, 0 :: v_dual_mov_b32 v39, 0
	s_delay_alu instid0(VALU_DEP_2)
	v_cmp_lt_u64_e64 s1, v[40:41], v[4:5]
	v_mov_b32_e32 v40, 0
	s_and_saveexec_b32 s2, s1
	s_cbranch_execz .LBB16_13
; %bb.12:                               ;   in Loop: Header=BB16_9 Depth=1
	v_add_nc_u64_e32 v[40:41], s[4:5], v[24:25]
	v_add_nc_u64_e32 v[42:43], s[4:5], v[26:27]
	global_load_u16 v39, v[40:41], off
	global_load_u16 v44, v[42:43], off
	s_wait_loadcnt 0x1
	v_cvt_f32_f16_e32 v39, v39
	s_wait_loadcnt 0x0
	s_wait_xcnt 0x1
	v_cvt_f32_f16_e32 v40, v44
.LBB16_13:                              ;   in Loop: Header=BB16_9 Depth=1
	s_wait_xcnt 0x0
	s_or_b32 exec_lo, exec_lo, s2
	v_add_nc_u64_e32 v[42:43], s[10:11], v[16:17]
	v_mov_b32_e32 v41, 0
	s_delay_alu instid0(VALU_DEP_2)
	v_cmp_lt_u64_e64 s2, v[42:43], v[4:5]
	s_and_saveexec_b32 s3, s2
	s_cbranch_execz .LBB16_15
; %bb.14:                               ;   in Loop: Header=BB16_9 Depth=1
	v_add_nc_u64_e32 v[42:43], s[4:5], v[28:29]
	v_add_nc_u64_e32 v[44:45], s[4:5], v[30:31]
	global_load_u16 v36, v[42:43], off
	global_load_u16 v46, v[44:45], off
	s_wait_loadcnt 0x1
	v_cvt_f32_f16_e32 v41, v36
	s_wait_loadcnt 0x0
	v_cvt_f32_f16_e32 v36, v46
.LBB16_15:                              ;   in Loop: Header=BB16_9 Depth=1
	s_wait_xcnt 0x0
	s_or_b32 exec_lo, exec_lo, s3
	v_add_nc_u64_e32 v[42:43], s[10:11], v[14:15]
	s_delay_alu instid0(VALU_DEP_1)
	v_cmp_lt_u64_e64 s3, v[42:43], v[4:5]
	v_dual_mov_b32 v42, 0 :: v_dual_mov_b32 v43, 0
	s_and_saveexec_b32 s14, s3
	s_cbranch_execnz .LBB16_20
; %bb.16:                               ;   in Loop: Header=BB16_9 Depth=1
	s_or_b32 exec_lo, exec_lo, s14
	s_and_saveexec_b32 s14, vcc_lo
	s_cbranch_execnz .LBB16_21
.LBB16_17:                              ;   in Loop: Header=BB16_9 Depth=1
	s_or_b32 exec_lo, exec_lo, s14
	s_and_saveexec_b32 s14, s1
	s_cbranch_execnz .LBB16_22
.LBB16_18:                              ;   in Loop: Header=BB16_9 Depth=1
	s_or_b32 exec_lo, exec_lo, s14
	s_and_saveexec_b32 s1, s2
	s_cbranch_execnz .LBB16_23
.LBB16_19:                              ;   in Loop: Header=BB16_9 Depth=1
	s_or_b32 exec_lo, exec_lo, s1
	s_and_saveexec_b32 s1, s3
	s_cbranch_execz .LBB16_8
	s_branch .LBB16_24
.LBB16_20:                              ;   in Loop: Header=BB16_9 Depth=1
	v_add_nc_u64_e32 v[42:43], s[4:5], v[18:19]
	v_add_nc_u64_e32 v[44:45], s[4:5], v[20:21]
	global_load_u16 v46, v[42:43], off
	global_load_u16 v47, v[44:45], off
	s_wait_loadcnt 0x1
	s_wait_xcnt 0x1
	v_cvt_f32_f16_e32 v43, v46
	s_wait_loadcnt 0x0
	v_cvt_f32_f16_e32 v42, v47
	s_wait_xcnt 0x0
	s_or_b32 exec_lo, exec_lo, s14
	s_and_saveexec_b32 s14, vcc_lo
	s_cbranch_execz .LBB16_17
.LBB16_21:                              ;   in Loop: Header=BB16_9 Depth=1
	v_sub_f32_e32 v44, v38, v37
	s_delay_alu instid0(VALU_DEP_1) | instskip(SKIP_1) | instid1(VALU_DEP_2)
	v_dual_fmac_f32 v37, s6, v44 :: v_dual_fma_f32 v38, -s7, v44, v38
	v_add_nc_u64_e32 v[44:45], s[4:5], v[12:13]
	v_cndmask_b32_e64 v37, v38, v37, s0
	s_delay_alu instid0(VALU_DEP_1)
	v_cvt_f16_f32_e32 v37, v37
	global_store_b16 v[44:45], v37, off
	s_wait_xcnt 0x0
	s_or_b32 exec_lo, exec_lo, s14
	s_and_saveexec_b32 s14, s1
	s_cbranch_execz .LBB16_18
.LBB16_22:                              ;   in Loop: Header=BB16_9 Depth=1
	v_sub_f32_e32 v37, v40, v39
	s_delay_alu instid0(VALU_DEP_1) | instskip(NEXT) | instid1(VALU_DEP_1)
	v_dual_fmac_f32 v39, s6, v37 :: v_dual_fma_f32 v37, -s7, v37, v40
	v_cndmask_b32_e64 v37, v37, v39, s0
	v_add_nc_u64_e32 v[38:39], s[4:5], v[34:35]
	s_delay_alu instid0(VALU_DEP_2)
	v_cvt_f16_f32_e32 v37, v37
	global_store_b16 v[38:39], v37, off
	s_wait_xcnt 0x0
	s_or_b32 exec_lo, exec_lo, s14
	s_and_saveexec_b32 s1, s2
	s_cbranch_execz .LBB16_19
.LBB16_23:                              ;   in Loop: Header=BB16_9 Depth=1
	v_sub_f32_e32 v37, v36, v41
	s_delay_alu instid0(VALU_DEP_1) | instskip(NEXT) | instid1(VALU_DEP_1)
	v_dual_fmac_f32 v41, s6, v37 :: v_dual_fma_f32 v36, -s7, v37, v36
	v_cndmask_b32_e64 v38, v36, v41, s0
	v_add_nc_u64_e32 v[36:37], s[4:5], v[32:33]
	s_delay_alu instid0(VALU_DEP_2)
	v_cvt_f16_f32_e32 v38, v38
	global_store_b16 v[36:37], v38, off
	s_wait_xcnt 0x0
	s_or_b32 exec_lo, exec_lo, s1
	s_and_saveexec_b32 s1, s3
	s_cbranch_execz .LBB16_8
.LBB16_24:                              ;   in Loop: Header=BB16_9 Depth=1
	v_sub_f32_e32 v36, v42, v43
	s_delay_alu instid0(VALU_DEP_1) | instskip(NEXT) | instid1(VALU_DEP_1)
	v_dual_fmac_f32 v43, s6, v36 :: v_dual_fma_f32 v36, -s7, v36, v42
	v_cndmask_b32_e64 v38, v36, v43, s0
	v_add_nc_u64_e32 v[36:37], s[4:5], v[22:23]
	s_delay_alu instid0(VALU_DEP_2)
	v_cvt_f16_f32_e32 v38, v38
	global_store_b16 v[36:37], v38, off
	s_branch .LBB16_8
.LBB16_25:
	s_endpgm
	.section	.rodata,"a",@progbits
	.p2align	6, 0x0
	.amdhsa_kernel _ZN2at6native12_GLOBAL__N_125multi_tensor_apply_kernelINS1_18TensorListMetadataILi3EEENS1_22TernaryOpScalarFunctorIN3c104HalfELi3ELi2ELi2EEEJNS0_11LerpFunctorIfEEfEEEvT_T0_DpT1_
		.amdhsa_group_segment_fixed_size 0
		.amdhsa_private_segment_fixed_size 0
		.amdhsa_kernarg_size 3408
		.amdhsa_user_sgpr_count 2
		.amdhsa_user_sgpr_dispatch_ptr 0
		.amdhsa_user_sgpr_queue_ptr 0
		.amdhsa_user_sgpr_kernarg_segment_ptr 1
		.amdhsa_user_sgpr_dispatch_id 0
		.amdhsa_user_sgpr_kernarg_preload_length 0
		.amdhsa_user_sgpr_kernarg_preload_offset 0
		.amdhsa_user_sgpr_private_segment_size 0
		.amdhsa_wavefront_size32 1
		.amdhsa_uses_dynamic_stack 0
		.amdhsa_enable_private_segment 0
		.amdhsa_system_sgpr_workgroup_id_x 1
		.amdhsa_system_sgpr_workgroup_id_y 0
		.amdhsa_system_sgpr_workgroup_id_z 0
		.amdhsa_system_sgpr_workgroup_info 0
		.amdhsa_system_vgpr_workitem_id 0
		.amdhsa_next_free_vgpr 48
		.amdhsa_next_free_sgpr 21
		.amdhsa_named_barrier_count 0
		.amdhsa_reserve_vcc 1
		.amdhsa_float_round_mode_32 0
		.amdhsa_float_round_mode_16_64 0
		.amdhsa_float_denorm_mode_32 3
		.amdhsa_float_denorm_mode_16_64 3
		.amdhsa_fp16_overflow 0
		.amdhsa_memory_ordered 1
		.amdhsa_forward_progress 1
		.amdhsa_inst_pref_size 13
		.amdhsa_round_robin_scheduling 0
		.amdhsa_exception_fp_ieee_invalid_op 0
		.amdhsa_exception_fp_denorm_src 0
		.amdhsa_exception_fp_ieee_div_zero 0
		.amdhsa_exception_fp_ieee_overflow 0
		.amdhsa_exception_fp_ieee_underflow 0
		.amdhsa_exception_fp_ieee_inexact 0
		.amdhsa_exception_int_div_zero 0
	.end_amdhsa_kernel
	.section	.text._ZN2at6native12_GLOBAL__N_125multi_tensor_apply_kernelINS1_18TensorListMetadataILi3EEENS1_22TernaryOpScalarFunctorIN3c104HalfELi3ELi2ELi2EEEJNS0_11LerpFunctorIfEEfEEEvT_T0_DpT1_,"axG",@progbits,_ZN2at6native12_GLOBAL__N_125multi_tensor_apply_kernelINS1_18TensorListMetadataILi3EEENS1_22TernaryOpScalarFunctorIN3c104HalfELi3ELi2ELi2EEEJNS0_11LerpFunctorIfEEfEEEvT_T0_DpT1_,comdat
.Lfunc_end16:
	.size	_ZN2at6native12_GLOBAL__N_125multi_tensor_apply_kernelINS1_18TensorListMetadataILi3EEENS1_22TernaryOpScalarFunctorIN3c104HalfELi3ELi2ELi2EEEJNS0_11LerpFunctorIfEEfEEEvT_T0_DpT1_, .Lfunc_end16-_ZN2at6native12_GLOBAL__N_125multi_tensor_apply_kernelINS1_18TensorListMetadataILi3EEENS1_22TernaryOpScalarFunctorIN3c104HalfELi3ELi2ELi2EEEJNS0_11LerpFunctorIfEEfEEEvT_T0_DpT1_
                                        ; -- End function
	.set _ZN2at6native12_GLOBAL__N_125multi_tensor_apply_kernelINS1_18TensorListMetadataILi3EEENS1_22TernaryOpScalarFunctorIN3c104HalfELi3ELi2ELi2EEEJNS0_11LerpFunctorIfEEfEEEvT_T0_DpT1_.num_vgpr, 48
	.set _ZN2at6native12_GLOBAL__N_125multi_tensor_apply_kernelINS1_18TensorListMetadataILi3EEENS1_22TernaryOpScalarFunctorIN3c104HalfELi3ELi2ELi2EEEJNS0_11LerpFunctorIfEEfEEEvT_T0_DpT1_.num_agpr, 0
	.set _ZN2at6native12_GLOBAL__N_125multi_tensor_apply_kernelINS1_18TensorListMetadataILi3EEENS1_22TernaryOpScalarFunctorIN3c104HalfELi3ELi2ELi2EEEJNS0_11LerpFunctorIfEEfEEEvT_T0_DpT1_.numbered_sgpr, 21
	.set _ZN2at6native12_GLOBAL__N_125multi_tensor_apply_kernelINS1_18TensorListMetadataILi3EEENS1_22TernaryOpScalarFunctorIN3c104HalfELi3ELi2ELi2EEEJNS0_11LerpFunctorIfEEfEEEvT_T0_DpT1_.num_named_barrier, 0
	.set _ZN2at6native12_GLOBAL__N_125multi_tensor_apply_kernelINS1_18TensorListMetadataILi3EEENS1_22TernaryOpScalarFunctorIN3c104HalfELi3ELi2ELi2EEEJNS0_11LerpFunctorIfEEfEEEvT_T0_DpT1_.private_seg_size, 0
	.set _ZN2at6native12_GLOBAL__N_125multi_tensor_apply_kernelINS1_18TensorListMetadataILi3EEENS1_22TernaryOpScalarFunctorIN3c104HalfELi3ELi2ELi2EEEJNS0_11LerpFunctorIfEEfEEEvT_T0_DpT1_.uses_vcc, 1
	.set _ZN2at6native12_GLOBAL__N_125multi_tensor_apply_kernelINS1_18TensorListMetadataILi3EEENS1_22TernaryOpScalarFunctorIN3c104HalfELi3ELi2ELi2EEEJNS0_11LerpFunctorIfEEfEEEvT_T0_DpT1_.uses_flat_scratch, 0
	.set _ZN2at6native12_GLOBAL__N_125multi_tensor_apply_kernelINS1_18TensorListMetadataILi3EEENS1_22TernaryOpScalarFunctorIN3c104HalfELi3ELi2ELi2EEEJNS0_11LerpFunctorIfEEfEEEvT_T0_DpT1_.has_dyn_sized_stack, 0
	.set _ZN2at6native12_GLOBAL__N_125multi_tensor_apply_kernelINS1_18TensorListMetadataILi3EEENS1_22TernaryOpScalarFunctorIN3c104HalfELi3ELi2ELi2EEEJNS0_11LerpFunctorIfEEfEEEvT_T0_DpT1_.has_recursion, 0
	.set _ZN2at6native12_GLOBAL__N_125multi_tensor_apply_kernelINS1_18TensorListMetadataILi3EEENS1_22TernaryOpScalarFunctorIN3c104HalfELi3ELi2ELi2EEEJNS0_11LerpFunctorIfEEfEEEvT_T0_DpT1_.has_indirect_call, 0
	.section	.AMDGPU.csdata,"",@progbits
; Kernel info:
; codeLenInByte = 1636
; TotalNumSgprs: 23
; NumVgprs: 48
; ScratchSize: 0
; MemoryBound: 0
; FloatMode: 240
; IeeeMode: 1
; LDSByteSize: 0 bytes/workgroup (compile time only)
; SGPRBlocks: 0
; VGPRBlocks: 2
; NumSGPRsForWavesPerEU: 23
; NumVGPRsForWavesPerEU: 48
; NamedBarCnt: 0
; Occupancy: 16
; WaveLimiterHint : 0
; COMPUTE_PGM_RSRC2:SCRATCH_EN: 0
; COMPUTE_PGM_RSRC2:USER_SGPR: 2
; COMPUTE_PGM_RSRC2:TRAP_HANDLER: 0
; COMPUTE_PGM_RSRC2:TGID_X_EN: 1
; COMPUTE_PGM_RSRC2:TGID_Y_EN: 0
; COMPUTE_PGM_RSRC2:TGID_Z_EN: 0
; COMPUTE_PGM_RSRC2:TIDIG_COMP_CNT: 0
	.section	.text._ZN2at6native12_GLOBAL__N_125multi_tensor_apply_kernelINS1_18TensorListMetadataILi3EEENS1_22TernaryOpScalarFunctorIN3c108BFloat16ELi3ELi2ELi2EEEJNS0_11LerpFunctorIfEEfEEEvT_T0_DpT1_,"axG",@progbits,_ZN2at6native12_GLOBAL__N_125multi_tensor_apply_kernelINS1_18TensorListMetadataILi3EEENS1_22TernaryOpScalarFunctorIN3c108BFloat16ELi3ELi2ELi2EEEJNS0_11LerpFunctorIfEEfEEEvT_T0_DpT1_,comdat
	.globl	_ZN2at6native12_GLOBAL__N_125multi_tensor_apply_kernelINS1_18TensorListMetadataILi3EEENS1_22TernaryOpScalarFunctorIN3c108BFloat16ELi3ELi2ELi2EEEJNS0_11LerpFunctorIfEEfEEEvT_T0_DpT1_ ; -- Begin function _ZN2at6native12_GLOBAL__N_125multi_tensor_apply_kernelINS1_18TensorListMetadataILi3EEENS1_22TernaryOpScalarFunctorIN3c108BFloat16ELi3ELi2ELi2EEEJNS0_11LerpFunctorIfEEfEEEvT_T0_DpT1_
	.p2align	8
	.type	_ZN2at6native12_GLOBAL__N_125multi_tensor_apply_kernelINS1_18TensorListMetadataILi3EEENS1_22TernaryOpScalarFunctorIN3c108BFloat16ELi3ELi2ELi2EEEJNS0_11LerpFunctorIfEEfEEEvT_T0_DpT1_,@function
_ZN2at6native12_GLOBAL__N_125multi_tensor_apply_kernelINS1_18TensorListMetadataILi3EEENS1_22TernaryOpScalarFunctorIN3c108BFloat16ELi3ELi2ELi2EEEJNS0_11LerpFunctorIfEEfEEEvT_T0_DpT1_: ; @_ZN2at6native12_GLOBAL__N_125multi_tensor_apply_kernelINS1_18TensorListMetadataILi3EEENS1_22TernaryOpScalarFunctorIN3c108BFloat16ELi3ELi2ELi2EEEJNS0_11LerpFunctorIfEEfEEEvT_T0_DpT1_
; %bb.0:
	s_bfe_u32 s2, ttmp6, 0x4000c
	s_and_b32 s3, ttmp6, 15
	s_add_co_i32 s2, s2, 1
	s_getreg_b32 s4, hwreg(HW_REG_IB_STS2, 6, 4)
	s_mul_i32 s2, ttmp9, s2
	s_load_b32 s18, s[0:1], 0xc4c
	s_add_co_i32 s2, s3, s2
	s_cmp_eq_u32 s4, 0
	s_mov_b32 s3, 0
	s_cselect_b32 s2, ttmp9, s2
	s_delay_alu instid0(SALU_CYCLE_1) | instskip(SKIP_1) | instid1(SALU_CYCLE_1)
	s_add_nc_u64 s[4:5], s[0:1], s[2:3]
	s_mul_u64 s[6:7], s[2:3], 3
	s_add_nc_u64 s[4:5], s[4:5], s[6:7]
	s_clause 0x1
	s_load_b32 s6, s[4:5], 0x740
	s_load_u8 s7, s[0:1], s2 offset:0x600
	s_wait_kmcnt 0x0
	s_clause 0x3
	s_load_b64 s[8:9], s[0:1], s7 offset:0x180 scale_offset
	s_load_b64 s[10:11], s[0:1], s7 offset:0x300 scale_offset
	s_load_b64 s[12:13], s[0:1], s7 offset:0x0 scale_offset
	s_load_b64 s[14:15], s[0:1], s7 offset:0x480 scale_offset
	s_wait_xcnt 0x0
	s_ashr_i32 s7, s6, 31
	s_delay_alu instid0(SALU_CYCLE_1) | instskip(SKIP_2) | instid1(SALU_CYCLE_1)
	s_lshl_b64 s[4:5], s[6:7], 17
	s_wait_kmcnt 0x0
	s_add_nc_u64 s[16:17], s[8:9], s[4:5]
	s_or_b32 s2, s10, s16
	s_and_b64 s[16:17], s[12:13], 7
	s_and_b32 s2, s2, 7
	s_delay_alu instid0(SALU_CYCLE_1)
	s_cmp_lg_u32 s2, 0
	s_cselect_b32 s19, -1, 0
	s_and_b32 s2, s14, 3
	s_lshl_b64 s[6:7], s[6:7], 16
	s_or_b64 s[2:3], s[16:17], s[2:3]
	s_sub_nc_u64 s[14:15], s[14:15], s[6:7]
	s_cmp_lg_u64 s[2:3], 0
	s_cselect_b32 s2, -1, 0
	s_delay_alu instid0(SALU_CYCLE_1) | instskip(NEXT) | instid1(SALU_CYCLE_1)
	s_or_b32 s2, s19, s2
	s_and_not1_b32 vcc_lo, exec_lo, s2
	s_mov_b32 s2, -1
	s_cbranch_vccz .LBB17_5
; %bb.1:
	v_min_i64 v[2:3], 0x10000, s[14:15]
	v_dual_mov_b32 v5, 0 :: v_dual_lshlrev_b32 v4, 2, v0
	s_mov_b32 s19, exec_lo
	s_delay_alu instid0(VALU_DEP_1)
	v_cmpx_lt_i64_e64 v[4:5], v[2:3]
	s_cbranch_execz .LBB17_4
; %bb.2:
	s_load_b32 s2, s[0:1], 0xc5c
	v_dual_mov_b32 v1, v5 :: v_dual_lshlrev_b32 v4, 3, v0
	s_and_b32 s3, s18, 0x7fffffff
	s_sub_f32 s20, 1.0, s18
	s_cmp_lt_f32 s3, 0.5
	s_delay_alu instid0(VALU_DEP_1)
	v_mov_b64_e32 v[6:7], v[0:1]
	v_add_nc_u64_e32 v[4:5], s[4:5], v[4:5]
	s_mov_b32 s7, 0
	s_cselect_b32 vcc_lo, -1, 0
	s_mov_b32 s17, s7
	s_mov_b32 s21, s7
	s_wait_kmcnt 0x0
	s_and_b32 s6, s2, 0xffff
	s_delay_alu instid0(SALU_CYCLE_1)
	s_lshl_b32 s16, s6, 3
.LBB17_3:                               ; =>This Inner Loop Header: Depth=1
	v_add_nc_u64_e32 v[8:9], s[12:13], v[4:5]
	v_add_nc_u64_e32 v[10:11], s[8:9], v[4:5]
	;; [unrolled: 1-line block ×3, first 2 shown]
	global_load_b64 v[12:13], v[8:9], off
	global_load_b64 v[14:15], v[10:11], off
	s_wait_xcnt 0x1
	v_lshlrev_b64_e32 v[8:9], 2, v[6:7]
	s_wait_loadcnt 0x0
	s_wait_xcnt 0x0
	v_dual_lshlrev_b32 v1, 16, v12 :: v_dual_lshlrev_b32 v10, 16, v14
	v_and_b32_e32 v11, 0xffff0000, v12
	v_and_b32_e32 v16, 0xffff0000, v14
	v_alignbit_b32 v17, v13, v12, 16
	v_alignbit_b32 v18, v15, v14, 16
	v_and_b32_e32 v19, 0xffff0000, v13
	v_and_b32_e32 v20, 0xffff0000, v15
	v_dual_sub_f32 v1, v10, v1 :: v_dual_sub_f32 v10, v16, v11
	v_and_b32_e32 v11, 0xffff0000, v17
	v_and_b32_e32 v16, 0xffff0000, v18
	s_delay_alu instid0(VALU_DEP_4) | instskip(NEXT) | instid1(VALU_DEP_4)
	v_sub_f32_e32 v19, v20, v19
	v_fma_mix_f32_bf16 v20, s18, v1, v12 op_sel_hi:[0,0,1]
	v_fma_mix_f32_bf16 v1, -s20, v1, v14 op_sel_hi:[0,0,1]
	v_fma_mix_f32_bf16 v12, s18, v10, v12 op_sel:[0,0,1] op_sel_hi:[0,0,1]
	v_fma_mix_f32_bf16 v10, -s20, v10, v14 op_sel:[0,0,1] op_sel_hi:[0,0,1]
	s_delay_alu instid0(VALU_DEP_3) | instskip(SKIP_2) | instid1(VALU_DEP_4)
	v_dual_sub_f32 v11, v16, v11 :: v_dual_cndmask_b32 v1, v1, v20, vcc_lo
	v_fma_mix_f32_bf16 v13, s18, v19, v13 op_sel:[0,0,1] op_sel_hi:[0,0,1]
	v_fma_mix_f32_bf16 v14, -s20, v19, v15 op_sel:[0,0,1] op_sel_hi:[0,0,1]
	v_cndmask_b32_e32 v10, v10, v12, vcc_lo
	s_delay_alu instid0(VALU_DEP_4)
	v_fma_mix_f32_bf16 v12, s18, v11, v17 op_sel:[0,0,1] op_sel_hi:[0,0,1]
	v_fma_mix_f32_bf16 v11, -s20, v11, v18 op_sel:[0,0,1] op_sel_hi:[0,0,1]
	v_cmp_o_f32_e64 s3, v1, v1
	v_cndmask_b32_e32 v13, v14, v13, vcc_lo
	v_bfe_u32 v14, v1, 16, 1
	v_bfe_u32 v15, v10, 16, 1
	v_cndmask_b32_e32 v11, v11, v12, vcc_lo
	v_cmp_o_f32_e64 s2, v10, v10
	v_bfe_u32 v12, v13, 16, 1
	v_add3_u32 v14, v1, v14, 0x7fff
	v_add3_u32 v15, v10, v15, 0x7fff
	v_bfe_u32 v16, v11, 16, 1
	s_delay_alu instid0(VALU_DEP_4) | instskip(NEXT) | instid1(VALU_DEP_3)
	v_add3_u32 v12, v13, v12, 0x7fff
	v_and_b32_e32 v15, 0xffff0000, v15
	s_delay_alu instid0(VALU_DEP_3) | instskip(SKIP_1) | instid1(VALU_DEP_4)
	v_add3_u32 v16, v11, v16, 0x7fff
	v_lshrrev_b32_e32 v14, 16, v14
	v_and_b32_e32 v10, 0xffff0000, v12
	s_delay_alu instid0(VALU_DEP_3) | instskip(NEXT) | instid1(VALU_DEP_3)
	v_lshrrev_b32_e32 v12, 16, v16
	v_cndmask_b32_e64 v1, 0x7fc0, v14, s3
	v_cndmask_b32_e64 v14, 0x7fc00000, v15, s2
	v_cmp_o_f32_e64 s2, v13, v13
	s_delay_alu instid0(VALU_DEP_2) | instskip(NEXT) | instid1(VALU_DEP_2)
	v_or_b32_e32 v1, v1, v14
	v_cndmask_b32_e64 v10, 0x7fc00000, v10, s2
	v_cmp_o_f32_e64 s2, v11, v11
	s_delay_alu instid0(VALU_DEP_1) | instskip(SKIP_3) | instid1(VALU_DEP_4)
	v_cndmask_b32_e64 v11, 0x7fc0, v12, s2
	v_cmp_ge_i64_e64 s2, v[8:9], v[2:3]
	v_add_nc_u64_e32 v[8:9], s[10:11], v[4:5]
	v_add_nc_u64_e32 v[4:5], s[16:17], v[4:5]
	v_or3_b32 v11, 0, v11, v10
	v_or3_b32 v10, v1, 0, 0
	s_or_b32 s21, s2, s21
	global_store_b64 v[8:9], v[10:11], off
	s_wait_xcnt 0x0
	s_and_not1_b32 exec_lo, exec_lo, s21
	s_cbranch_execnz .LBB17_3
.LBB17_4:
	s_or_b32 exec_lo, exec_lo, s19
	s_mov_b32 s2, 0
.LBB17_5:
	s_delay_alu instid0(SALU_CYCLE_1)
	s_and_not1_b32 vcc_lo, exec_lo, s2
	s_cbranch_vccnz .LBB17_25
; %bb.6:
	v_cmp_lt_i64_e64 s2, s[14:15], 1
	s_and_b32 vcc_lo, exec_lo, s2
	s_cbranch_vccnz .LBB17_25
; %bb.7:
	s_load_b32 s0, s[0:1], 0xc5c
	v_min_i64 v[2:3], 0x10000, s[14:15]
	v_min_u64 v[6:7], 0x10000, s[14:15]
	v_dual_mov_b32 v4, 0 :: v_dual_lshlrev_b32 v18, 1, v0
	s_mov_b32 s7, 0
	s_wait_xcnt 0x0
	s_and_b32 s1, s18, 0x7fffffff
	s_mov_b32 s3, s7
	v_dual_mov_b32 v19, v4 :: v_dual_mov_b32 v1, v4
	s_mov_b32 s15, s7
	s_mov_b32 s17, s7
	s_delay_alu instid0(VALU_DEP_1) | instskip(SKIP_4) | instid1(SALU_CYCLE_1)
	v_add_nc_u64_e32 v[8:9], s[12:13], v[18:19]
	v_add_nc_u64_e32 v[10:11], s[8:9], v[18:19]
	;; [unrolled: 1-line block ×3, first 2 shown]
	s_wait_kmcnt 0x0
	s_and_b32 s2, s0, 0xffff
	s_lshl_b32 s14, s2, 1
	s_cmp_lt_f32 s1, 0.5
	v_add_nc_u64_e32 v[12:13], s[2:3], v[0:1]
	v_mad_nc_u64_u32 v[24:25], s2, 6, v[18:19]
	v_mov_b32_e32 v37, v4
	s_cselect_b32 s0, -1, 0
	s_lshl_b32 s6, s2, 2
	s_mul_i32 s16, s2, 3
	v_add_nc_u64_e32 v[34:35], s[6:7], v[18:19]
	v_lshlrev_b32_e32 v36, 1, v12
	v_add_nc_u64_e32 v[16:17], s[16:17], v[0:1]
	v_add_nc_u64_e32 v[18:19], s[14:15], v[0:1]
	;; [unrolled: 1-line block ×11, first 2 shown]
	s_sub_f32 s12, 1.0, s18
	s_lshl_b32 s8, s2, 3
	s_mov_b32 s9, s7
	s_mov_b64 s[10:11], 0
	s_branch .LBB17_9
.LBB17_8:                               ;   in Loop: Header=BB17_9 Depth=1
	s_wait_xcnt 0x0
	s_or_b32 exec_lo, exec_lo, s1
	s_add_nc_u64 s[10:11], s[10:11], s[6:7]
	v_add_nc_u64_e32 v[8:9], s[8:9], v[8:9]
	v_cmp_ge_i64_e32 vcc_lo, s[10:11], v[2:3]
	v_add_nc_u64_e32 v[10:11], s[8:9], v[10:11]
	v_add_nc_u64_e32 v[14:15], s[8:9], v[14:15]
	;; [unrolled: 1-line block ×11, first 2 shown]
	s_cbranch_vccnz .LBB17_25
.LBB17_9:                               ; =>This Inner Loop Header: Depth=1
	v_add_nc_u64_e32 v[40:41], s[10:11], v[0:1]
	v_mov_b64_e32 v[38:39], 0
	s_delay_alu instid0(VALU_DEP_2)
	v_cmp_lt_u64_e32 vcc_lo, v[40:41], v[6:7]
	v_mov_b64_e32 v[40:41], 0
	s_and_saveexec_b32 s1, vcc_lo
	s_cbranch_execz .LBB17_11
; %bb.10:                               ;   in Loop: Header=BB17_9 Depth=1
	v_add_nc_u64_e32 v[38:39], s[4:5], v[8:9]
	v_add_nc_u64_e32 v[40:41], s[4:5], v[10:11]
	global_load_u16 v5, v[38:39], off
	global_load_u16 v42, v[40:41], off
	s_wait_xcnt 0x0
	v_dual_mov_b32 v41, s7 :: v_dual_mov_b32 v39, s7
	s_wait_loadcnt 0x1
	v_and_b32_e32 v40, 0xffff, v5
	s_wait_loadcnt 0x0
	v_and_b32_e32 v38, 0xffff, v42
.LBB17_11:                              ;   in Loop: Header=BB17_9 Depth=1
	s_or_b32 exec_lo, exec_lo, s1
	v_add_nc_u64_e32 v[42:43], s[10:11], v[12:13]
	s_delay_alu instid0(VALU_DEP_1)
	v_cmp_lt_u64_e64 s1, v[42:43], v[6:7]
	s_and_saveexec_b32 s2, s1
	s_cbranch_execz .LBB17_13
; %bb.12:                               ;   in Loop: Header=BB17_9 Depth=1
	v_add_nc_u64_e32 v[42:43], s[4:5], v[26:27]
	v_add_nc_u64_e32 v[44:45], s[4:5], v[28:29]
	global_load_u16 v5, v[42:43], off
	global_load_u16 v46, v[44:45], off
	s_wait_loadcnt 0x1
	v_lshl_or_b32 v40, v5, 16, v40
	s_wait_loadcnt 0x0
	v_lshl_or_b32 v38, v46, 16, v38
.LBB17_13:                              ;   in Loop: Header=BB17_9 Depth=1
	s_wait_xcnt 0x0
	s_or_b32 exec_lo, exec_lo, s2
	v_add_nc_u64_e32 v[42:43], s[10:11], v[18:19]
	s_delay_alu instid0(VALU_DEP_1) | instskip(SKIP_2) | instid1(SALU_CYCLE_1)
	v_cmp_lt_u64_e64 s2, v[42:43], v[6:7]
	v_cmp_ge_u64_e64 s3, v[42:43], v[6:7]
	s_and_saveexec_b32 s13, s3
	s_xor_b32 s3, exec_lo, s13
	s_delay_alu instid0(SALU_CYCLE_1)
	s_and_not1_saveexec_b32 s3, s3
	s_cbranch_execz .LBB17_15
; %bb.14:                               ;   in Loop: Header=BB17_9 Depth=1
	v_add_nc_u64_e32 v[42:43], s[4:5], v[30:31]
	v_add_nc_u64_e32 v[44:45], s[4:5], v[32:33]
	global_load_u16 v5, v[42:43], off
	global_load_u16 v46, v[44:45], off
	s_wait_loadcnt 0x1
	v_or_b32_e32 v41, v5, v41
	s_wait_loadcnt 0x0
	v_or_b32_e32 v39, v46, v39
.LBB17_15:                              ;   in Loop: Header=BB17_9 Depth=1
	s_wait_xcnt 0x0
	s_or_b32 exec_lo, exec_lo, s3
	v_add_nc_u64_e32 v[42:43], s[10:11], v[16:17]
	s_delay_alu instid0(VALU_DEP_1)
	v_cmp_lt_u64_e64 s3, v[42:43], v[6:7]
	s_and_saveexec_b32 s13, s3
	s_cbranch_execnz .LBB17_20
; %bb.16:                               ;   in Loop: Header=BB17_9 Depth=1
	s_or_b32 exec_lo, exec_lo, s13
	s_and_saveexec_b32 s13, vcc_lo
	s_cbranch_execnz .LBB17_21
.LBB17_17:                              ;   in Loop: Header=BB17_9 Depth=1
	s_or_b32 exec_lo, exec_lo, s13
	s_and_saveexec_b32 s13, s1
	s_cbranch_execnz .LBB17_22
.LBB17_18:                              ;   in Loop: Header=BB17_9 Depth=1
	s_or_b32 exec_lo, exec_lo, s13
	s_and_saveexec_b32 s1, s2
	s_cbranch_execnz .LBB17_23
.LBB17_19:                              ;   in Loop: Header=BB17_9 Depth=1
	s_or_b32 exec_lo, exec_lo, s1
	s_and_saveexec_b32 s1, s3
	s_cbranch_execz .LBB17_8
	s_branch .LBB17_24
.LBB17_20:                              ;   in Loop: Header=BB17_9 Depth=1
	v_add_nc_u64_e32 v[42:43], s[4:5], v[22:23]
	v_add_nc_u64_e32 v[44:45], s[4:5], v[20:21]
	global_load_u16 v5, v[42:43], off
	global_load_u16 v46, v[44:45], off
	s_wait_loadcnt 0x0
	s_wait_xcnt 0x1
	v_dual_lshlrev_b32 v5, 16, v5 :: v_dual_lshlrev_b32 v42, 16, v46
	s_delay_alu instid0(VALU_DEP_1) | instskip(NEXT) | instid1(VALU_DEP_2)
	v_add_nc_u64_e32 v[38:39], v[4:5], v[38:39]
	v_or_b32_e32 v41, v42, v41
	s_wait_xcnt 0x0
	s_or_b32 exec_lo, exec_lo, s13
	s_and_saveexec_b32 s13, vcc_lo
	s_cbranch_execz .LBB17_17
.LBB17_21:                              ;   in Loop: Header=BB17_9 Depth=1
	s_delay_alu instid0(VALU_DEP_2) | instskip(NEXT) | instid1(VALU_DEP_1)
	v_dual_lshlrev_b32 v5, 16, v38 :: v_dual_lshlrev_b32 v42, 16, v40
	v_sub_f32_e32 v5, v5, v42
	s_delay_alu instid0(VALU_DEP_1) | instskip(SKIP_1) | instid1(VALU_DEP_1)
	v_fma_mix_f32_bf16 v42, s18, v5, v40 op_sel_hi:[0,0,1]
	v_fma_mix_f32_bf16 v5, -s12, v5, v38 op_sel_hi:[0,0,1]
	v_cndmask_b32_e64 v5, v5, v42, s0
	s_delay_alu instid0(VALU_DEP_1) | instskip(SKIP_1) | instid1(VALU_DEP_2)
	v_bfe_u32 v42, v5, 16, 1
	v_cmp_o_f32_e32 vcc_lo, v5, v5
	v_add3_u32 v42, v5, v42, 0x7fff
	s_delay_alu instid0(VALU_DEP_1) | instskip(SKIP_1) | instid1(VALU_DEP_2)
	v_lshrrev_b32_e32 v44, 16, v42
	v_add_nc_u64_e32 v[42:43], s[4:5], v[14:15]
	v_cndmask_b32_e32 v5, 0x7fc0, v44, vcc_lo
	global_store_b16 v[42:43], v5, off
	s_wait_xcnt 0x0
	s_or_b32 exec_lo, exec_lo, s13
	s_and_saveexec_b32 s13, s1
	s_cbranch_execz .LBB17_18
.LBB17_22:                              ;   in Loop: Header=BB17_9 Depth=1
	v_and_b32_e32 v5, 0xffff0000, v40
	v_and_b32_e32 v42, 0xffff0000, v38
	s_delay_alu instid0(VALU_DEP_1) | instskip(NEXT) | instid1(VALU_DEP_1)
	v_sub_f32_e32 v5, v42, v5
	v_fma_mix_f32_bf16 v42, s18, v5, v40 op_sel:[0,0,1] op_sel_hi:[0,0,1]
	v_fma_mix_f32_bf16 v5, -s12, v5, v38 op_sel:[0,0,1] op_sel_hi:[0,0,1]
	s_delay_alu instid0(VALU_DEP_1) | instskip(NEXT) | instid1(VALU_DEP_1)
	v_cndmask_b32_e64 v5, v5, v42, s0
	v_bfe_u32 v42, v5, 16, 1
	v_cmp_o_f32_e32 vcc_lo, v5, v5
	s_delay_alu instid0(VALU_DEP_2) | instskip(NEXT) | instid1(VALU_DEP_1)
	v_add3_u32 v42, v5, v42, 0x7fff
	v_lshrrev_b32_e32 v44, 16, v42
	v_add_nc_u64_e32 v[42:43], s[4:5], v[36:37]
	s_delay_alu instid0(VALU_DEP_2)
	v_cndmask_b32_e32 v5, 0x7fc0, v44, vcc_lo
	global_store_b16 v[42:43], v5, off
	s_wait_xcnt 0x0
	s_or_b32 exec_lo, exec_lo, s13
	s_and_saveexec_b32 s1, s2
	s_cbranch_execz .LBB17_19
.LBB17_23:                              ;   in Loop: Header=BB17_9 Depth=1
	v_alignbit_b32 v5, v41, v40, 16
	v_alignbit_b32 v38, v39, v38, 16
	s_delay_alu instid0(VALU_DEP_2) | instskip(NEXT) | instid1(VALU_DEP_2)
	v_and_b32_e32 v40, 0xffff0000, v5
	v_and_b32_e32 v42, 0xffff0000, v38
	s_delay_alu instid0(VALU_DEP_1) | instskip(SKIP_1) | instid1(VALU_DEP_2)
	v_sub_f32_e32 v40, v42, v40
	v_add_nc_u64_e32 v[42:43], s[4:5], v[34:35]
	v_fma_mix_f32_bf16 v5, s18, v40, v5 op_sel:[0,0,1] op_sel_hi:[0,0,1]
	v_fma_mix_f32_bf16 v38, -s12, v40, v38 op_sel:[0,0,1] op_sel_hi:[0,0,1]
	s_delay_alu instid0(VALU_DEP_1) | instskip(NEXT) | instid1(VALU_DEP_1)
	v_cndmask_b32_e64 v5, v38, v5, s0
	v_bfe_u32 v38, v5, 16, 1
	v_cmp_o_f32_e32 vcc_lo, v5, v5
	s_delay_alu instid0(VALU_DEP_2) | instskip(NEXT) | instid1(VALU_DEP_1)
	v_add3_u32 v38, v5, v38, 0x7fff
	v_lshrrev_b32_e32 v38, 16, v38
	s_delay_alu instid0(VALU_DEP_1)
	v_cndmask_b32_e32 v5, 0x7fc0, v38, vcc_lo
	global_store_b16 v[42:43], v5, off
	s_wait_xcnt 0x0
	s_or_b32 exec_lo, exec_lo, s1
	s_and_saveexec_b32 s1, s3
	s_cbranch_execz .LBB17_8
.LBB17_24:                              ;   in Loop: Header=BB17_9 Depth=1
	v_and_b32_e32 v5, 0xffff0000, v41
	v_and_b32_e32 v38, 0xffff0000, v39
	s_delay_alu instid0(VALU_DEP_1) | instskip(NEXT) | instid1(VALU_DEP_1)
	v_sub_f32_e32 v5, v38, v5
	v_fma_mix_f32_bf16 v38, s18, v5, v41 op_sel:[0,0,1] op_sel_hi:[0,0,1]
	v_fma_mix_f32_bf16 v5, -s12, v5, v39 op_sel:[0,0,1] op_sel_hi:[0,0,1]
	s_delay_alu instid0(VALU_DEP_1) | instskip(NEXT) | instid1(VALU_DEP_1)
	v_cndmask_b32_e64 v5, v5, v38, s0
	v_bfe_u32 v38, v5, 16, 1
	v_cmp_o_f32_e32 vcc_lo, v5, v5
	s_delay_alu instid0(VALU_DEP_2) | instskip(NEXT) | instid1(VALU_DEP_1)
	v_add3_u32 v38, v5, v38, 0x7fff
	v_lshrrev_b32_e32 v40, 16, v38
	v_add_nc_u64_e32 v[38:39], s[4:5], v[24:25]
	s_delay_alu instid0(VALU_DEP_2)
	v_cndmask_b32_e32 v5, 0x7fc0, v40, vcc_lo
	global_store_b16 v[38:39], v5, off
	s_branch .LBB17_8
.LBB17_25:
	s_endpgm
	.section	.rodata,"a",@progbits
	.p2align	6, 0x0
	.amdhsa_kernel _ZN2at6native12_GLOBAL__N_125multi_tensor_apply_kernelINS1_18TensorListMetadataILi3EEENS1_22TernaryOpScalarFunctorIN3c108BFloat16ELi3ELi2ELi2EEEJNS0_11LerpFunctorIfEEfEEEvT_T0_DpT1_
		.amdhsa_group_segment_fixed_size 0
		.amdhsa_private_segment_fixed_size 0
		.amdhsa_kernarg_size 3408
		.amdhsa_user_sgpr_count 2
		.amdhsa_user_sgpr_dispatch_ptr 0
		.amdhsa_user_sgpr_queue_ptr 0
		.amdhsa_user_sgpr_kernarg_segment_ptr 1
		.amdhsa_user_sgpr_dispatch_id 0
		.amdhsa_user_sgpr_kernarg_preload_length 0
		.amdhsa_user_sgpr_kernarg_preload_offset 0
		.amdhsa_user_sgpr_private_segment_size 0
		.amdhsa_wavefront_size32 1
		.amdhsa_uses_dynamic_stack 0
		.amdhsa_enable_private_segment 0
		.amdhsa_system_sgpr_workgroup_id_x 1
		.amdhsa_system_sgpr_workgroup_id_y 0
		.amdhsa_system_sgpr_workgroup_id_z 0
		.amdhsa_system_sgpr_workgroup_info 0
		.amdhsa_system_vgpr_workitem_id 0
		.amdhsa_next_free_vgpr 47
		.amdhsa_next_free_sgpr 22
		.amdhsa_named_barrier_count 0
		.amdhsa_reserve_vcc 1
		.amdhsa_float_round_mode_32 0
		.amdhsa_float_round_mode_16_64 0
		.amdhsa_float_denorm_mode_32 3
		.amdhsa_float_denorm_mode_16_64 3
		.amdhsa_fp16_overflow 0
		.amdhsa_memory_ordered 1
		.amdhsa_forward_progress 1
		.amdhsa_inst_pref_size 17
		.amdhsa_round_robin_scheduling 0
		.amdhsa_exception_fp_ieee_invalid_op 0
		.amdhsa_exception_fp_denorm_src 0
		.amdhsa_exception_fp_ieee_div_zero 0
		.amdhsa_exception_fp_ieee_overflow 0
		.amdhsa_exception_fp_ieee_underflow 0
		.amdhsa_exception_fp_ieee_inexact 0
		.amdhsa_exception_int_div_zero 0
	.end_amdhsa_kernel
	.section	.text._ZN2at6native12_GLOBAL__N_125multi_tensor_apply_kernelINS1_18TensorListMetadataILi3EEENS1_22TernaryOpScalarFunctorIN3c108BFloat16ELi3ELi2ELi2EEEJNS0_11LerpFunctorIfEEfEEEvT_T0_DpT1_,"axG",@progbits,_ZN2at6native12_GLOBAL__N_125multi_tensor_apply_kernelINS1_18TensorListMetadataILi3EEENS1_22TernaryOpScalarFunctorIN3c108BFloat16ELi3ELi2ELi2EEEJNS0_11LerpFunctorIfEEfEEEvT_T0_DpT1_,comdat
.Lfunc_end17:
	.size	_ZN2at6native12_GLOBAL__N_125multi_tensor_apply_kernelINS1_18TensorListMetadataILi3EEENS1_22TernaryOpScalarFunctorIN3c108BFloat16ELi3ELi2ELi2EEEJNS0_11LerpFunctorIfEEfEEEvT_T0_DpT1_, .Lfunc_end17-_ZN2at6native12_GLOBAL__N_125multi_tensor_apply_kernelINS1_18TensorListMetadataILi3EEENS1_22TernaryOpScalarFunctorIN3c108BFloat16ELi3ELi2ELi2EEEJNS0_11LerpFunctorIfEEfEEEvT_T0_DpT1_
                                        ; -- End function
	.set _ZN2at6native12_GLOBAL__N_125multi_tensor_apply_kernelINS1_18TensorListMetadataILi3EEENS1_22TernaryOpScalarFunctorIN3c108BFloat16ELi3ELi2ELi2EEEJNS0_11LerpFunctorIfEEfEEEvT_T0_DpT1_.num_vgpr, 47
	.set _ZN2at6native12_GLOBAL__N_125multi_tensor_apply_kernelINS1_18TensorListMetadataILi3EEENS1_22TernaryOpScalarFunctorIN3c108BFloat16ELi3ELi2ELi2EEEJNS0_11LerpFunctorIfEEfEEEvT_T0_DpT1_.num_agpr, 0
	.set _ZN2at6native12_GLOBAL__N_125multi_tensor_apply_kernelINS1_18TensorListMetadataILi3EEENS1_22TernaryOpScalarFunctorIN3c108BFloat16ELi3ELi2ELi2EEEJNS0_11LerpFunctorIfEEfEEEvT_T0_DpT1_.numbered_sgpr, 22
	.set _ZN2at6native12_GLOBAL__N_125multi_tensor_apply_kernelINS1_18TensorListMetadataILi3EEENS1_22TernaryOpScalarFunctorIN3c108BFloat16ELi3ELi2ELi2EEEJNS0_11LerpFunctorIfEEfEEEvT_T0_DpT1_.num_named_barrier, 0
	.set _ZN2at6native12_GLOBAL__N_125multi_tensor_apply_kernelINS1_18TensorListMetadataILi3EEENS1_22TernaryOpScalarFunctorIN3c108BFloat16ELi3ELi2ELi2EEEJNS0_11LerpFunctorIfEEfEEEvT_T0_DpT1_.private_seg_size, 0
	.set _ZN2at6native12_GLOBAL__N_125multi_tensor_apply_kernelINS1_18TensorListMetadataILi3EEENS1_22TernaryOpScalarFunctorIN3c108BFloat16ELi3ELi2ELi2EEEJNS0_11LerpFunctorIfEEfEEEvT_T0_DpT1_.uses_vcc, 1
	.set _ZN2at6native12_GLOBAL__N_125multi_tensor_apply_kernelINS1_18TensorListMetadataILi3EEENS1_22TernaryOpScalarFunctorIN3c108BFloat16ELi3ELi2ELi2EEEJNS0_11LerpFunctorIfEEfEEEvT_T0_DpT1_.uses_flat_scratch, 0
	.set _ZN2at6native12_GLOBAL__N_125multi_tensor_apply_kernelINS1_18TensorListMetadataILi3EEENS1_22TernaryOpScalarFunctorIN3c108BFloat16ELi3ELi2ELi2EEEJNS0_11LerpFunctorIfEEfEEEvT_T0_DpT1_.has_dyn_sized_stack, 0
	.set _ZN2at6native12_GLOBAL__N_125multi_tensor_apply_kernelINS1_18TensorListMetadataILi3EEENS1_22TernaryOpScalarFunctorIN3c108BFloat16ELi3ELi2ELi2EEEJNS0_11LerpFunctorIfEEfEEEvT_T0_DpT1_.has_recursion, 0
	.set _ZN2at6native12_GLOBAL__N_125multi_tensor_apply_kernelINS1_18TensorListMetadataILi3EEENS1_22TernaryOpScalarFunctorIN3c108BFloat16ELi3ELi2ELi2EEEJNS0_11LerpFunctorIfEEfEEEvT_T0_DpT1_.has_indirect_call, 0
	.section	.AMDGPU.csdata,"",@progbits
; Kernel info:
; codeLenInByte = 2136
; TotalNumSgprs: 24
; NumVgprs: 47
; ScratchSize: 0
; MemoryBound: 0
; FloatMode: 240
; IeeeMode: 1
; LDSByteSize: 0 bytes/workgroup (compile time only)
; SGPRBlocks: 0
; VGPRBlocks: 2
; NumSGPRsForWavesPerEU: 24
; NumVGPRsForWavesPerEU: 47
; NamedBarCnt: 0
; Occupancy: 16
; WaveLimiterHint : 0
; COMPUTE_PGM_RSRC2:SCRATCH_EN: 0
; COMPUTE_PGM_RSRC2:USER_SGPR: 2
; COMPUTE_PGM_RSRC2:TRAP_HANDLER: 0
; COMPUTE_PGM_RSRC2:TGID_X_EN: 1
; COMPUTE_PGM_RSRC2:TGID_Y_EN: 0
; COMPUTE_PGM_RSRC2:TGID_Z_EN: 0
; COMPUTE_PGM_RSRC2:TIDIG_COMP_CNT: 0
	.section	.text._ZN2at6native12_GLOBAL__N_125multi_tensor_apply_kernelINS1_18TensorListMetadataILi2EEENS1_22TernaryOpScalarFunctorIdLi2ELi2ELi0EEEJNS0_11LerpFunctorIdEEdEEEvT_T0_DpT1_,"axG",@progbits,_ZN2at6native12_GLOBAL__N_125multi_tensor_apply_kernelINS1_18TensorListMetadataILi2EEENS1_22TernaryOpScalarFunctorIdLi2ELi2ELi0EEEJNS0_11LerpFunctorIdEEdEEEvT_T0_DpT1_,comdat
	.globl	_ZN2at6native12_GLOBAL__N_125multi_tensor_apply_kernelINS1_18TensorListMetadataILi2EEENS1_22TernaryOpScalarFunctorIdLi2ELi2ELi0EEEJNS0_11LerpFunctorIdEEdEEEvT_T0_DpT1_ ; -- Begin function _ZN2at6native12_GLOBAL__N_125multi_tensor_apply_kernelINS1_18TensorListMetadataILi2EEENS1_22TernaryOpScalarFunctorIdLi2ELi2ELi0EEEJNS0_11LerpFunctorIdEEdEEEvT_T0_DpT1_
	.p2align	8
	.type	_ZN2at6native12_GLOBAL__N_125multi_tensor_apply_kernelINS1_18TensorListMetadataILi2EEENS1_22TernaryOpScalarFunctorIdLi2ELi2ELi0EEEJNS0_11LerpFunctorIdEEdEEEvT_T0_DpT1_,@function
_ZN2at6native12_GLOBAL__N_125multi_tensor_apply_kernelINS1_18TensorListMetadataILi2EEENS1_22TernaryOpScalarFunctorIdLi2ELi2ELi0EEEJNS0_11LerpFunctorIdEEdEEEvT_T0_DpT1_: ; @_ZN2at6native12_GLOBAL__N_125multi_tensor_apply_kernelINS1_18TensorListMetadataILi2EEENS1_22TernaryOpScalarFunctorIdLi2ELi2ELi0EEEJNS0_11LerpFunctorIdEEdEEEvT_T0_DpT1_
; %bb.0:
	s_bfe_u32 s2, ttmp6, 0x4000c
	s_and_b32 s3, ttmp6, 15
	s_add_co_i32 s2, s2, 1
	s_getreg_b32 s4, hwreg(HW_REG_IB_STS2, 6, 4)
	s_mul_i32 s2, ttmp9, s2
	s_mov_b32 s11, 0
	s_add_co_i32 s3, s3, s2
	s_cmp_eq_u32 s4, 0
	s_mov_b32 s17, s11
	s_cselect_b32 s10, ttmp9, s3
	s_load_u8 s13, s[0:1], s10 offset:0x600
	s_add_nc_u64 s[2:3], s[0:1], s[10:11]
	s_mul_u64 s[4:5], s[10:11], 3
	s_delay_alu instid0(SALU_CYCLE_1)
	s_add_nc_u64 s[6:7], s[2:3], s[4:5]
	s_load_b32 s12, s[6:7], 0x740
	s_wait_kmcnt 0x0
	s_clause 0x3
	s_load_b64 s[2:3], s[0:1], s13 offset:0x0 scale_offset
	s_load_b64 s[8:9], s[0:1], s13 offset:0x200 scale_offset
	;; [unrolled: 1-line block ×3, first 2 shown]
	s_load_b64 s[4:5], s[0:1], 0xc50
	s_wait_xcnt 0x0
	s_ashr_i32 s13, s12, 31
	s_delay_alu instid0(SALU_CYCLE_1)
	s_lshl_b64 s[6:7], s[12:13], 19
	s_wait_kmcnt 0x0
	s_and_b64 s[20:21], s[8:9], 31
	s_add_nc_u64 s[18:19], s[2:3], s[6:7]
	s_and_b32 s16, s14, 3
	s_and_b32 s10, s18, 31
	s_or_b64 s[16:17], s[20:21], s[16:17]
	s_lshl_b64 s[12:13], s[12:13], 16
	s_or_b64 s[16:17], s[16:17], s[10:11]
	s_sub_nc_u64 s[10:11], s[14:15], s[12:13]
	s_cmp_eq_u64 s[16:17], 0
	s_mov_b32 s12, -1
	s_cbranch_scc0 .LBB18_21
; %bb.1:
	v_min_i64 v[22:23], 0x10000, s[10:11]
	v_dual_mov_b32 v3, 0 :: v_dual_lshlrev_b32 v2, 2, v0
	s_mov_b32 s16, exec_lo
	s_delay_alu instid0(VALU_DEP_1)
	v_cmpx_lt_i64_e64 v[2:3], v[22:23]
	s_cbranch_execz .LBB18_20
; %bb.2:
	v_add_f64_e64 v[24:25], -s[4:5], 1.0
	v_cmp_nlt_f64_e64 s17, |s[4:5]|, 0.5
	s_load_b32 s12, s[0:1], 0xc64
	v_dual_mov_b32 v1, v3 :: v_dual_lshlrev_b32 v2, 5, v0
	s_mov_b32 s13, 0
	s_delay_alu instid0(SALU_CYCLE_1) | instskip(NEXT) | instid1(VALU_DEP_1)
	s_mov_b32 s15, s13
	v_add_nc_u64_e32 v[26:27], s[6:7], v[2:3]
	s_delay_alu instid0(VALU_DEP_2) | instskip(SKIP_3) | instid1(SALU_CYCLE_1)
	v_mov_b64_e32 v[28:29], v[0:1]
	s_mov_b32 s18, s13
	s_wait_kmcnt 0x0
	s_and_b32 s12, s12, 0xffff
	s_lshl_b32 s14, s12, 5
	s_branch .LBB18_4
.LBB18_3:                               ;   in Loop: Header=BB18_4 Depth=1
	v_add_nc_u64_e32 v[28:29], s[12:13], v[28:29]
	v_add_nc_u64_e32 v[26:27], s[14:15], v[26:27]
	s_clause 0x1
	global_store_b128 v[30:31], v[2:5], off
	global_store_b128 v[30:31], v[14:17], off offset:16
	v_lshlrev_b64_e32 v[6:7], 2, v[28:29]
	s_delay_alu instid0(VALU_DEP_1)
	v_cmp_ge_i64_e32 vcc_lo, v[6:7], v[22:23]
	s_or_b32 s18, vcc_lo, s18
	s_wait_xcnt 0x0
	s_and_not1_b32 exec_lo, exec_lo, s18
	s_cbranch_execz .LBB18_20
.LBB18_4:                               ; =>This Inner Loop Header: Depth=1
	v_add_nc_u64_e32 v[2:3], s[8:9], v[26:27]
	v_add_nc_u64_e32 v[30:31], s[2:3], v[26:27]
	s_and_b32 vcc_lo, exec_lo, s17
	s_mov_b32 s19, -1
	global_load_b128 v[18:21], v[2:3], off
	s_clause 0x1
	global_load_b128 v[14:17], v[30:31], off
	global_load_b128 v[6:9], v[30:31], off offset:16
	global_load_b128 v[10:13], v[2:3], off offset:16
                                        ; implicit-def: $vgpr2_vgpr3
	s_wait_loadcnt 0x2
	v_add_f64_e64 v[4:5], v[18:19], -v[14:15]
	s_cbranch_vccz .LBB18_8
; %bb.5:                                ;   in Loop: Header=BB18_4 Depth=1
	s_wait_xcnt 0x0
	s_delay_alu instid0(VALU_DEP_1)
	v_fma_f64 v[2:3], -v[24:25], v[4:5], v[18:19]
	s_cbranch_execz .LBB18_9
.LBB18_6:                               ;   in Loop: Header=BB18_4 Depth=1
	v_add_f64_e64 v[14:15], v[20:21], -v[16:17]
	s_and_not1_b32 vcc_lo, exec_lo, s17
	s_mov_b32 s19, -1
	s_cbranch_vccnz .LBB18_10
.LBB18_7:                               ;   in Loop: Header=BB18_4 Depth=1
	s_delay_alu instid0(VALU_DEP_1)
	v_fma_f64 v[4:5], -v[24:25], v[14:15], v[20:21]
	s_cbranch_execnz .LBB18_12
	s_branch .LBB18_11
.LBB18_8:                               ;   in Loop: Header=BB18_4 Depth=1
	s_and_not1_b32 vcc_lo, exec_lo, s19
	s_cbranch_vccnz .LBB18_6
.LBB18_9:                               ;   in Loop: Header=BB18_4 Depth=1
	s_delay_alu instid0(VALU_DEP_1) | instskip(SKIP_1) | instid1(VALU_DEP_1)
	v_fmac_f64_e32 v[14:15], s[4:5], v[4:5]
	s_wait_xcnt 0x0
	v_mov_b64_e32 v[2:3], v[14:15]
	v_add_f64_e64 v[14:15], v[20:21], -v[16:17]
	s_and_not1_b32 vcc_lo, exec_lo, s17
	s_mov_b32 s19, -1
	s_cbranch_vccz .LBB18_7
.LBB18_10:                              ;   in Loop: Header=BB18_4 Depth=1
	s_and_not1_b32 vcc_lo, exec_lo, s19
	s_cbranch_vccnz .LBB18_12
.LBB18_11:                              ;   in Loop: Header=BB18_4 Depth=1
	s_delay_alu instid0(VALU_DEP_1) | instskip(NEXT) | instid1(VALU_DEP_1)
	v_fmac_f64_e32 v[16:17], s[4:5], v[14:15]
	v_mov_b64_e32 v[4:5], v[16:17]
.LBB18_12:                              ;   in Loop: Header=BB18_4 Depth=1
	s_wait_loadcnt 0x0
	v_add_f64_e64 v[16:17], v[10:11], -v[6:7]
	s_and_not1_b32 vcc_lo, exec_lo, s17
	s_mov_b32 s19, -1
                                        ; implicit-def: $vgpr14_vgpr15
	s_cbranch_vccnz .LBB18_16
; %bb.13:                               ;   in Loop: Header=BB18_4 Depth=1
	s_delay_alu instid0(VALU_DEP_1)
	v_fma_f64 v[14:15], -v[24:25], v[16:17], v[10:11]
	s_cbranch_execz .LBB18_17
.LBB18_14:                              ;   in Loop: Header=BB18_4 Depth=1
	v_add_f64_e64 v[6:7], v[12:13], -v[8:9]
	s_and_not1_b32 vcc_lo, exec_lo, s17
	s_mov_b32 s19, -1
	s_cbranch_vccnz .LBB18_18
.LBB18_15:                              ;   in Loop: Header=BB18_4 Depth=1
	s_delay_alu instid0(VALU_DEP_1)
	v_fma_f64 v[16:17], -v[24:25], v[6:7], v[12:13]
	s_cbranch_execnz .LBB18_3
	s_branch .LBB18_19
.LBB18_16:                              ;   in Loop: Header=BB18_4 Depth=1
	s_and_not1_b32 vcc_lo, exec_lo, s19
	s_cbranch_vccnz .LBB18_14
.LBB18_17:                              ;   in Loop: Header=BB18_4 Depth=1
	s_delay_alu instid0(VALU_DEP_1) | instskip(NEXT) | instid1(VALU_DEP_1)
	v_fmac_f64_e32 v[6:7], s[4:5], v[16:17]
	v_mov_b64_e32 v[14:15], v[6:7]
	v_add_f64_e64 v[6:7], v[12:13], -v[8:9]
	s_and_not1_b32 vcc_lo, exec_lo, s17
	s_mov_b32 s19, -1
	s_cbranch_vccz .LBB18_15
.LBB18_18:                              ;   in Loop: Header=BB18_4 Depth=1
	s_and_not1_b32 vcc_lo, exec_lo, s19
	s_cbranch_vccnz .LBB18_3
.LBB18_19:                              ;   in Loop: Header=BB18_4 Depth=1
	s_delay_alu instid0(VALU_DEP_1) | instskip(NEXT) | instid1(VALU_DEP_1)
	v_fmac_f64_e32 v[8:9], s[4:5], v[6:7]
	v_mov_b64_e32 v[16:17], v[8:9]
	s_branch .LBB18_3
.LBB18_20:
	s_or_b32 exec_lo, exec_lo, s16
	s_mov_b32 s12, 0
.LBB18_21:
	s_delay_alu instid0(SALU_CYCLE_1)
	s_and_not1_b32 vcc_lo, exec_lo, s12
	s_cbranch_vccnz .LBB18_57
; %bb.22:
	v_cmp_lt_i64_e64 s12, s[10:11], 1
	s_and_b32 vcc_lo, exec_lo, s12
	s_cbranch_vccnz .LBB18_57
; %bb.23:
	s_load_b32 s0, s[0:1], 0xc64
	v_min_i64 v[2:3], 0x10000, s[10:11]
	v_min_u64 v[4:5], 0x10000, s[10:11]
	v_cmp_nlt_f64_e64 s14, |s[4:5]|, 0.5
	v_add_f64_e64 v[6:7], -s[4:5], 1.0
	v_dual_mov_b32 v1, 0 :: v_dual_lshlrev_b32 v12, 3, v0
	s_mov_b32 s11, 0
	s_delay_alu instid0(SALU_CYCLE_1) | instskip(NEXT) | instid1(VALU_DEP_1)
	s_mov_b32 s17, s11
	v_dual_mov_b32 v13, v1 :: v_dual_mov_b32 v29, v1
	s_wait_xcnt 0x0
	s_mov_b32 s1, s11
	s_mov_b32 s13, s11
	s_delay_alu instid0(VALU_DEP_1) | instskip(SKIP_2) | instid1(SALU_CYCLE_1)
	v_add_nc_u64_e32 v[8:9], s[2:3], v[12:13]
	s_wait_kmcnt 0x0
	s_and_b32 s10, s0, 0xffff
	v_add_nc_u64_e32 v[10:11], s[10:11], v[0:1]
	v_mad_nc_u64_u32 v[24:25], s10, 24, v[12:13]
	s_lshl_b32 s16, s10, 4
	s_mul_i32 s12, s10, 3
	v_add_nc_u64_e32 v[20:21], s[16:17], v[12:13]
	s_lshl_b32 s0, s10, 1
	v_add_nc_u64_e32 v[12:13], s[8:9], v[12:13]
	v_lshlrev_b32_e32 v28, 3, v10
	v_add_nc_u64_e32 v[14:15], s[12:13], v[0:1]
	v_add_nc_u64_e32 v[16:17], s[0:1], v[0:1]
	s_mov_b64 s[12:13], 0
	v_add_nc_u64_e32 v[18:19], s[2:3], v[20:21]
	v_add_nc_u64_e32 v[20:21], s[8:9], v[20:21]
	;; [unrolled: 1-line block ×6, first 2 shown]
	s_lshl_b32 s8, s10, 2
	s_mov_b32 s9, s11
	s_lshl_b32 s10, s10, 5
	s_branch .LBB18_25
.LBB18_24:                              ;   in Loop: Header=BB18_25 Depth=1
	s_wait_xcnt 0x0
	s_or_b32 exec_lo, exec_lo, s0
	s_add_nc_u64 s[12:13], s[12:13], s[8:9]
	v_add_nc_u64_e32 v[8:9], s[10:11], v[8:9]
	v_cmp_ge_i64_e32 vcc_lo, s[12:13], v[2:3]
	v_add_nc_u64_e32 v[12:13], s[10:11], v[12:13]
	v_add_nc_u64_e32 v[22:23], s[10:11], v[22:23]
	;; [unrolled: 1-line block ×7, first 2 shown]
	s_cbranch_vccnz .LBB18_57
.LBB18_25:                              ; =>This Inner Loop Header: Depth=1
	v_add_nc_u64_e32 v[30:31], s[12:13], v[0:1]
	v_mov_b64_e32 v[34:35], 0
	v_mov_b64_e32 v[46:47], 0
	;; [unrolled: 1-line block ×3, first 2 shown]
	s_delay_alu instid0(VALU_DEP_4)
	v_cmp_lt_u64_e64 s0, v[30:31], v[4:5]
	s_and_saveexec_b32 s1, s0
	s_cbranch_execz .LBB18_27
; %bb.26:                               ;   in Loop: Header=BB18_25 Depth=1
	v_add_nc_u64_e32 v[30:31], s[6:7], v[8:9]
	v_add_nc_u64_e32 v[32:33], s[6:7], v[12:13]
	global_load_b64 v[42:43], v[30:31], off
	global_load_b64 v[46:47], v[32:33], off
.LBB18_27:                              ;   in Loop: Header=BB18_25 Depth=1
	s_wait_xcnt 0x0
	s_or_b32 exec_lo, exec_lo, s1
	v_add_nc_u64_e32 v[30:31], s[12:13], v[10:11]
	v_mov_b64_e32 v[38:39], 0
	s_delay_alu instid0(VALU_DEP_2)
	v_cmp_lt_u64_e64 s1, v[30:31], v[4:5]
	s_and_saveexec_b32 s2, s1
	s_cbranch_execz .LBB18_29
; %bb.28:                               ;   in Loop: Header=BB18_25 Depth=1
	v_add_nc_u64_e32 v[30:31], s[6:7], v[26:27]
	v_add_nc_u64_e32 v[32:33], s[6:7], v[28:29]
	global_load_b64 v[38:39], v[30:31], off
	global_load_b64 v[34:35], v[32:33], off
.LBB18_29:                              ;   in Loop: Header=BB18_25 Depth=1
	s_wait_xcnt 0x0
	s_or_b32 exec_lo, exec_lo, s2
	v_add_nc_u64_e32 v[32:33], s[12:13], v[16:17]
	v_mov_b64_e32 v[30:31], 0
	v_mov_b64_e32 v[44:45], 0
	v_mov_b64_e32 v[36:37], 0
	s_delay_alu instid0(VALU_DEP_4)
	v_cmp_lt_u64_e64 s2, v[32:33], v[4:5]
	s_and_saveexec_b32 s3, s2
	s_cbranch_execz .LBB18_31
; %bb.30:                               ;   in Loop: Header=BB18_25 Depth=1
	v_add_nc_u64_e32 v[32:33], s[6:7], v[18:19]
	v_add_nc_u64_e32 v[40:41], s[6:7], v[20:21]
	global_load_b64 v[36:37], v[32:33], off
	global_load_b64 v[44:45], v[40:41], off
.LBB18_31:                              ;   in Loop: Header=BB18_25 Depth=1
	s_wait_xcnt 0x0
	s_or_b32 exec_lo, exec_lo, s3
	v_add_nc_u64_e32 v[32:33], s[12:13], v[14:15]
	s_delay_alu instid0(VALU_DEP_1)
	v_cmp_lt_u64_e64 s3, v[32:33], v[4:5]
	v_mov_b64_e32 v[32:33], 0
	s_and_saveexec_b32 s15, s3
	s_cbranch_execz .LBB18_33
; %bb.32:                               ;   in Loop: Header=BB18_25 Depth=1
	v_add_nc_u64_e32 v[40:41], s[6:7], v[22:23]
	v_add_nc_u64_e32 v[48:49], s[6:7], v[24:25]
	global_load_b64 v[32:33], v[40:41], off
	global_load_b64 v[30:31], v[48:49], off
.LBB18_33:                              ;   in Loop: Header=BB18_25 Depth=1
	s_wait_xcnt 0x0
	s_or_b32 exec_lo, exec_lo, s15
	s_wait_loadcnt 0x0
	v_add_f64_e64 v[48:49], v[46:47], -v[42:43]
	s_and_b32 vcc_lo, exec_lo, s14
	s_mov_b32 s15, -1
                                        ; implicit-def: $vgpr40_vgpr41
	s_cbranch_vccz .LBB18_35
; %bb.34:                               ;   in Loop: Header=BB18_25 Depth=1
	s_delay_alu instid0(VALU_DEP_1)
	v_fma_f64 v[40:41], -v[6:7], v[48:49], v[46:47]
	s_cbranch_execnz .LBB18_37
	s_branch .LBB18_36
.LBB18_35:                              ;   in Loop: Header=BB18_25 Depth=1
	s_and_not1_b32 vcc_lo, exec_lo, s15
	s_cbranch_vccnz .LBB18_37
.LBB18_36:                              ;   in Loop: Header=BB18_25 Depth=1
	s_delay_alu instid0(VALU_DEP_1) | instskip(NEXT) | instid1(VALU_DEP_1)
	v_fmac_f64_e32 v[42:43], s[4:5], v[48:49]
	v_mov_b64_e32 v[40:41], v[42:43]
.LBB18_37:                              ;   in Loop: Header=BB18_25 Depth=1
	v_add_f64_e64 v[46:47], v[34:35], -v[38:39]
	s_and_not1_b32 vcc_lo, exec_lo, s14
	s_mov_b32 s15, -1
                                        ; implicit-def: $vgpr42_vgpr43
	s_cbranch_vccnz .LBB18_39
; %bb.38:                               ;   in Loop: Header=BB18_25 Depth=1
	s_delay_alu instid0(VALU_DEP_1)
	v_fma_f64 v[42:43], -v[6:7], v[46:47], v[34:35]
	s_cbranch_execnz .LBB18_41
	s_branch .LBB18_40
.LBB18_39:                              ;   in Loop: Header=BB18_25 Depth=1
	s_and_not1_b32 vcc_lo, exec_lo, s15
	s_cbranch_vccnz .LBB18_41
.LBB18_40:                              ;   in Loop: Header=BB18_25 Depth=1
	s_delay_alu instid0(VALU_DEP_1) | instskip(NEXT) | instid1(VALU_DEP_1)
	v_fmac_f64_e32 v[38:39], s[4:5], v[46:47]
	v_mov_b64_e32 v[42:43], v[38:39]
.LBB18_41:                              ;   in Loop: Header=BB18_25 Depth=1
	v_add_f64_e64 v[38:39], v[44:45], -v[36:37]
	s_and_not1_b32 vcc_lo, exec_lo, s14
	s_mov_b32 s15, -1
                                        ; implicit-def: $vgpr34_vgpr35
	s_cbranch_vccnz .LBB18_43
; %bb.42:                               ;   in Loop: Header=BB18_25 Depth=1
	s_delay_alu instid0(VALU_DEP_1)
	v_fma_f64 v[34:35], -v[6:7], v[38:39], v[44:45]
	s_cbranch_execnz .LBB18_45
	s_branch .LBB18_44
.LBB18_43:                              ;   in Loop: Header=BB18_25 Depth=1
	s_and_not1_b32 vcc_lo, exec_lo, s15
	s_cbranch_vccnz .LBB18_45
.LBB18_44:                              ;   in Loop: Header=BB18_25 Depth=1
	s_delay_alu instid0(VALU_DEP_1) | instskip(NEXT) | instid1(VALU_DEP_1)
	v_fmac_f64_e32 v[36:37], s[4:5], v[38:39]
	v_mov_b64_e32 v[34:35], v[36:37]
.LBB18_45:                              ;   in Loop: Header=BB18_25 Depth=1
	v_add_f64_e64 v[38:39], v[30:31], -v[32:33]
	s_and_not1_b32 vcc_lo, exec_lo, s14
	s_mov_b32 s15, -1
                                        ; implicit-def: $vgpr36_vgpr37
	s_cbranch_vccnz .LBB18_51
; %bb.46:                               ;   in Loop: Header=BB18_25 Depth=1
	s_delay_alu instid0(VALU_DEP_1)
	v_fma_f64 v[36:37], -v[6:7], v[38:39], v[30:31]
	s_cbranch_execz .LBB18_52
.LBB18_47:                              ;   in Loop: Header=BB18_25 Depth=1
	s_and_saveexec_b32 s15, s0
	s_delay_alu instid0(SALU_CYCLE_1)
	s_xor_b32 s0, exec_lo, s15
	s_cbranch_execz .LBB18_53
.LBB18_48:                              ;   in Loop: Header=BB18_25 Depth=1
	v_add_nc_u64_e32 v[30:31], s[6:7], v[8:9]
	global_store_b64 v[30:31], v[40:41], off
	s_wait_xcnt 0x0
	s_or_b32 exec_lo, exec_lo, s0
	s_and_saveexec_b32 s0, s1
	s_cbranch_execnz .LBB18_54
.LBB18_49:                              ;   in Loop: Header=BB18_25 Depth=1
	s_or_b32 exec_lo, exec_lo, s0
	s_and_saveexec_b32 s0, s2
	s_cbranch_execz .LBB18_55
.LBB18_50:                              ;   in Loop: Header=BB18_25 Depth=1
	v_add_nc_u64_e32 v[30:31], s[6:7], v[18:19]
	global_store_b64 v[30:31], v[34:35], off
	s_wait_xcnt 0x0
	s_or_b32 exec_lo, exec_lo, s0
	s_and_saveexec_b32 s0, s3
	s_cbranch_execz .LBB18_24
	s_branch .LBB18_56
.LBB18_51:                              ;   in Loop: Header=BB18_25 Depth=1
	s_and_not1_b32 vcc_lo, exec_lo, s15
	s_cbranch_vccnz .LBB18_47
.LBB18_52:                              ;   in Loop: Header=BB18_25 Depth=1
	s_delay_alu instid0(VALU_DEP_1) | instskip(NEXT) | instid1(VALU_DEP_1)
	v_fmac_f64_e32 v[32:33], s[4:5], v[38:39]
	v_mov_b64_e32 v[36:37], v[32:33]
	s_and_saveexec_b32 s15, s0
	s_delay_alu instid0(SALU_CYCLE_1)
	s_xor_b32 s0, exec_lo, s15
	s_cbranch_execnz .LBB18_48
.LBB18_53:                              ;   in Loop: Header=BB18_25 Depth=1
	s_or_b32 exec_lo, exec_lo, s0
	s_and_saveexec_b32 s0, s1
	s_cbranch_execz .LBB18_49
.LBB18_54:                              ;   in Loop: Header=BB18_25 Depth=1
	v_add_nc_u64_e32 v[30:31], s[6:7], v[26:27]
	global_store_b64 v[30:31], v[42:43], off
	s_wait_xcnt 0x0
	s_or_b32 exec_lo, exec_lo, s0
	s_and_saveexec_b32 s0, s2
	s_cbranch_execnz .LBB18_50
.LBB18_55:                              ;   in Loop: Header=BB18_25 Depth=1
	s_or_b32 exec_lo, exec_lo, s0
	s_and_saveexec_b32 s0, s3
	s_cbranch_execz .LBB18_24
.LBB18_56:                              ;   in Loop: Header=BB18_25 Depth=1
	v_add_nc_u64_e32 v[30:31], s[6:7], v[22:23]
	global_store_b64 v[30:31], v[36:37], off
	s_branch .LBB18_24
.LBB18_57:
	s_endpgm
	.section	.rodata,"a",@progbits
	.p2align	6, 0x0
	.amdhsa_kernel _ZN2at6native12_GLOBAL__N_125multi_tensor_apply_kernelINS1_18TensorListMetadataILi2EEENS1_22TernaryOpScalarFunctorIdLi2ELi2ELi0EEEJNS0_11LerpFunctorIdEEdEEEvT_T0_DpT1_
		.amdhsa_group_segment_fixed_size 0
		.amdhsa_private_segment_fixed_size 0
		.amdhsa_kernarg_size 3416
		.amdhsa_user_sgpr_count 2
		.amdhsa_user_sgpr_dispatch_ptr 0
		.amdhsa_user_sgpr_queue_ptr 0
		.amdhsa_user_sgpr_kernarg_segment_ptr 1
		.amdhsa_user_sgpr_dispatch_id 0
		.amdhsa_user_sgpr_kernarg_preload_length 0
		.amdhsa_user_sgpr_kernarg_preload_offset 0
		.amdhsa_user_sgpr_private_segment_size 0
		.amdhsa_wavefront_size32 1
		.amdhsa_uses_dynamic_stack 0
		.amdhsa_enable_private_segment 0
		.amdhsa_system_sgpr_workgroup_id_x 1
		.amdhsa_system_sgpr_workgroup_id_y 0
		.amdhsa_system_sgpr_workgroup_id_z 0
		.amdhsa_system_sgpr_workgroup_info 0
		.amdhsa_system_vgpr_workitem_id 0
		.amdhsa_next_free_vgpr 50
		.amdhsa_next_free_sgpr 22
		.amdhsa_named_barrier_count 0
		.amdhsa_reserve_vcc 1
		.amdhsa_float_round_mode_32 0
		.amdhsa_float_round_mode_16_64 0
		.amdhsa_float_denorm_mode_32 3
		.amdhsa_float_denorm_mode_16_64 3
		.amdhsa_fp16_overflow 0
		.amdhsa_memory_ordered 1
		.amdhsa_forward_progress 1
		.amdhsa_inst_pref_size 14
		.amdhsa_round_robin_scheduling 0
		.amdhsa_exception_fp_ieee_invalid_op 0
		.amdhsa_exception_fp_denorm_src 0
		.amdhsa_exception_fp_ieee_div_zero 0
		.amdhsa_exception_fp_ieee_overflow 0
		.amdhsa_exception_fp_ieee_underflow 0
		.amdhsa_exception_fp_ieee_inexact 0
		.amdhsa_exception_int_div_zero 0
	.end_amdhsa_kernel
	.section	.text._ZN2at6native12_GLOBAL__N_125multi_tensor_apply_kernelINS1_18TensorListMetadataILi2EEENS1_22TernaryOpScalarFunctorIdLi2ELi2ELi0EEEJNS0_11LerpFunctorIdEEdEEEvT_T0_DpT1_,"axG",@progbits,_ZN2at6native12_GLOBAL__N_125multi_tensor_apply_kernelINS1_18TensorListMetadataILi2EEENS1_22TernaryOpScalarFunctorIdLi2ELi2ELi0EEEJNS0_11LerpFunctorIdEEdEEEvT_T0_DpT1_,comdat
.Lfunc_end18:
	.size	_ZN2at6native12_GLOBAL__N_125multi_tensor_apply_kernelINS1_18TensorListMetadataILi2EEENS1_22TernaryOpScalarFunctorIdLi2ELi2ELi0EEEJNS0_11LerpFunctorIdEEdEEEvT_T0_DpT1_, .Lfunc_end18-_ZN2at6native12_GLOBAL__N_125multi_tensor_apply_kernelINS1_18TensorListMetadataILi2EEENS1_22TernaryOpScalarFunctorIdLi2ELi2ELi0EEEJNS0_11LerpFunctorIdEEdEEEvT_T0_DpT1_
                                        ; -- End function
	.set _ZN2at6native12_GLOBAL__N_125multi_tensor_apply_kernelINS1_18TensorListMetadataILi2EEENS1_22TernaryOpScalarFunctorIdLi2ELi2ELi0EEEJNS0_11LerpFunctorIdEEdEEEvT_T0_DpT1_.num_vgpr, 50
	.set _ZN2at6native12_GLOBAL__N_125multi_tensor_apply_kernelINS1_18TensorListMetadataILi2EEENS1_22TernaryOpScalarFunctorIdLi2ELi2ELi0EEEJNS0_11LerpFunctorIdEEdEEEvT_T0_DpT1_.num_agpr, 0
	.set _ZN2at6native12_GLOBAL__N_125multi_tensor_apply_kernelINS1_18TensorListMetadataILi2EEENS1_22TernaryOpScalarFunctorIdLi2ELi2ELi0EEEJNS0_11LerpFunctorIdEEdEEEvT_T0_DpT1_.numbered_sgpr, 22
	.set _ZN2at6native12_GLOBAL__N_125multi_tensor_apply_kernelINS1_18TensorListMetadataILi2EEENS1_22TernaryOpScalarFunctorIdLi2ELi2ELi0EEEJNS0_11LerpFunctorIdEEdEEEvT_T0_DpT1_.num_named_barrier, 0
	.set _ZN2at6native12_GLOBAL__N_125multi_tensor_apply_kernelINS1_18TensorListMetadataILi2EEENS1_22TernaryOpScalarFunctorIdLi2ELi2ELi0EEEJNS0_11LerpFunctorIdEEdEEEvT_T0_DpT1_.private_seg_size, 0
	.set _ZN2at6native12_GLOBAL__N_125multi_tensor_apply_kernelINS1_18TensorListMetadataILi2EEENS1_22TernaryOpScalarFunctorIdLi2ELi2ELi0EEEJNS0_11LerpFunctorIdEEdEEEvT_T0_DpT1_.uses_vcc, 1
	.set _ZN2at6native12_GLOBAL__N_125multi_tensor_apply_kernelINS1_18TensorListMetadataILi2EEENS1_22TernaryOpScalarFunctorIdLi2ELi2ELi0EEEJNS0_11LerpFunctorIdEEdEEEvT_T0_DpT1_.uses_flat_scratch, 0
	.set _ZN2at6native12_GLOBAL__N_125multi_tensor_apply_kernelINS1_18TensorListMetadataILi2EEENS1_22TernaryOpScalarFunctorIdLi2ELi2ELi0EEEJNS0_11LerpFunctorIdEEdEEEvT_T0_DpT1_.has_dyn_sized_stack, 0
	.set _ZN2at6native12_GLOBAL__N_125multi_tensor_apply_kernelINS1_18TensorListMetadataILi2EEENS1_22TernaryOpScalarFunctorIdLi2ELi2ELi0EEEJNS0_11LerpFunctorIdEEdEEEvT_T0_DpT1_.has_recursion, 0
	.set _ZN2at6native12_GLOBAL__N_125multi_tensor_apply_kernelINS1_18TensorListMetadataILi2EEENS1_22TernaryOpScalarFunctorIdLi2ELi2ELi0EEEJNS0_11LerpFunctorIdEEdEEEvT_T0_DpT1_.has_indirect_call, 0
	.section	.AMDGPU.csdata,"",@progbits
; Kernel info:
; codeLenInByte = 1724
; TotalNumSgprs: 24
; NumVgprs: 50
; ScratchSize: 0
; MemoryBound: 1
; FloatMode: 240
; IeeeMode: 1
; LDSByteSize: 0 bytes/workgroup (compile time only)
; SGPRBlocks: 0
; VGPRBlocks: 3
; NumSGPRsForWavesPerEU: 24
; NumVGPRsForWavesPerEU: 50
; NamedBarCnt: 0
; Occupancy: 16
; WaveLimiterHint : 0
; COMPUTE_PGM_RSRC2:SCRATCH_EN: 0
; COMPUTE_PGM_RSRC2:USER_SGPR: 2
; COMPUTE_PGM_RSRC2:TRAP_HANDLER: 0
; COMPUTE_PGM_RSRC2:TGID_X_EN: 1
; COMPUTE_PGM_RSRC2:TGID_Y_EN: 0
; COMPUTE_PGM_RSRC2:TGID_Z_EN: 0
; COMPUTE_PGM_RSRC2:TIDIG_COMP_CNT: 0
	.section	.text._ZN2at6native12_GLOBAL__N_125multi_tensor_apply_kernelINS1_18TensorListMetadataILi2EEENS1_22TernaryOpScalarFunctorIfLi2ELi2ELi0EEEJNS0_11LerpFunctorIfEEfEEEvT_T0_DpT1_,"axG",@progbits,_ZN2at6native12_GLOBAL__N_125multi_tensor_apply_kernelINS1_18TensorListMetadataILi2EEENS1_22TernaryOpScalarFunctorIfLi2ELi2ELi0EEEJNS0_11LerpFunctorIfEEfEEEvT_T0_DpT1_,comdat
	.globl	_ZN2at6native12_GLOBAL__N_125multi_tensor_apply_kernelINS1_18TensorListMetadataILi2EEENS1_22TernaryOpScalarFunctorIfLi2ELi2ELi0EEEJNS0_11LerpFunctorIfEEfEEEvT_T0_DpT1_ ; -- Begin function _ZN2at6native12_GLOBAL__N_125multi_tensor_apply_kernelINS1_18TensorListMetadataILi2EEENS1_22TernaryOpScalarFunctorIfLi2ELi2ELi0EEEJNS0_11LerpFunctorIfEEfEEEvT_T0_DpT1_
	.p2align	8
	.type	_ZN2at6native12_GLOBAL__N_125multi_tensor_apply_kernelINS1_18TensorListMetadataILi2EEENS1_22TernaryOpScalarFunctorIfLi2ELi2ELi0EEEJNS0_11LerpFunctorIfEEfEEEvT_T0_DpT1_,@function
_ZN2at6native12_GLOBAL__N_125multi_tensor_apply_kernelINS1_18TensorListMetadataILi2EEENS1_22TernaryOpScalarFunctorIfLi2ELi2ELi0EEEJNS0_11LerpFunctorIfEEfEEEvT_T0_DpT1_: ; @_ZN2at6native12_GLOBAL__N_125multi_tensor_apply_kernelINS1_18TensorListMetadataILi2EEENS1_22TernaryOpScalarFunctorIfLi2ELi2ELi0EEEJNS0_11LerpFunctorIfEEfEEEvT_T0_DpT1_
; %bb.0:
	s_bfe_u32 s2, ttmp6, 0x4000c
	s_and_b32 s3, ttmp6, 15
	s_add_co_i32 s2, s2, 1
	s_getreg_b32 s4, hwreg(HW_REG_IB_STS2, 6, 4)
	s_mul_i32 s2, ttmp9, s2
	s_delay_alu instid0(SALU_CYCLE_1)
	s_add_co_i32 s3, s3, s2
	s_cmp_eq_u32 s4, 0
	s_cselect_b32 s2, ttmp9, s3
	s_mov_b32 s3, 0
	s_load_u8 s13, s[0:1], s2 offset:0x600
	s_add_nc_u64 s[4:5], s[0:1], s[2:3]
	s_mul_u64 s[6:7], s[2:3], 3
	s_mov_b32 s17, s3
	s_add_nc_u64 s[6:7], s[4:5], s[6:7]
	s_load_b32 s12, s[6:7], 0x740
	s_wait_kmcnt 0x0
	s_clause 0x3
	s_load_b64 s[8:9], s[0:1], s13 offset:0x0 scale_offset
	s_load_b64 s[10:11], s[0:1], s13 offset:0x200 scale_offset
	;; [unrolled: 1-line block ×3, first 2 shown]
	s_load_b32 s4, s[0:1], 0xc4c
	s_wait_xcnt 0x0
	s_ashr_i32 s13, s12, 31
	s_delay_alu instid0(SALU_CYCLE_1)
	s_lshl_b64 s[6:7], s[12:13], 18
	s_wait_kmcnt 0x0
	s_and_b64 s[20:21], s[10:11], 15
	s_add_nc_u64 s[18:19], s[8:9], s[6:7]
	s_and_b32 s16, s14, 3
	s_and_b32 s2, s18, 15
	s_or_b64 s[16:17], s[20:21], s[16:17]
	s_lshl_b64 s[12:13], s[12:13], 16
	s_or_b64 s[2:3], s[16:17], s[2:3]
	s_sub_nc_u64 s[12:13], s[14:15], s[12:13]
	s_cmp_eq_u64 s[2:3], 0
	s_mov_b32 s2, -1
	s_cbranch_scc0 .LBB19_5
; %bb.1:
	v_min_i64 v[2:3], 0x10000, s[12:13]
	v_dual_mov_b32 v7, 0 :: v_dual_lshlrev_b32 v6, 2, v0
	s_mov_b32 s3, exec_lo
	s_delay_alu instid0(VALU_DEP_1)
	v_cmpx_lt_i64_e64 v[6:7], v[2:3]
	s_cbranch_execz .LBB19_4
; %bb.2:
	s_load_b32 s2, s[0:1], 0xc5c
	s_sub_f32 s18, 1.0, s4
	v_dual_mov_b32 v1, v7 :: v_dual_lshlrev_b32 v6, 4, v0
	s_and_b32 s14, s4, 0x7fffffff
	s_mov_b32 s5, s4
	s_mov_b32 s19, s18
	s_cmp_lt_f32 s14, 0.5
	v_mov_b64_e32 v[4:5], s[4:5]
	v_add_nc_u64_e32 v[6:7], s[6:7], v[6:7]
	v_mov_b64_e32 v[8:9], v[0:1]
	v_mov_b64_e32 v[10:11], s[18:19]
	s_mov_b32 s15, 0
	s_cselect_b32 vcc_lo, -1, 0
	s_add_nc_u64 s[16:17], s[8:9], 8
	s_mov_b32 s19, s15
	s_mov_b32 s5, s15
	s_wait_kmcnt 0x0
	s_and_b32 s14, s2, 0xffff
	s_delay_alu instid0(SALU_CYCLE_1)
	s_lshl_b32 s18, s14, 4
.LBB19_3:                               ; =>This Inner Loop Header: Depth=1
	v_add_nc_u64_e32 v[20:21], s[16:17], v[6:7]
	v_add_nc_u64_e32 v[22:23], s[10:11], v[6:7]
	;; [unrolled: 1-line block ×4, first 2 shown]
	global_load_b128 v[12:15], v[20:21], off offset:-8
	global_load_b128 v[16:19], v[22:23], off
	s_wait_xcnt 0x0
	v_lshlrev_b64_e32 v[22:23], 2, v[8:9]
	s_delay_alu instid0(VALU_DEP_1) | instskip(SKIP_4) | instid1(VALU_DEP_2)
	v_cmp_ge_i64_e64 s2, v[22:23], v[2:3]
	s_or_b32 s5, s2, s5
	s_wait_loadcnt 0x0
	v_pk_add_f32 v[24:25], v[16:17], v[12:13] neg_lo:[0,1] neg_hi:[0,1]
	v_pk_add_f32 v[26:27], v[18:19], v[14:15] neg_lo:[0,1] neg_hi:[0,1]
	v_pk_fma_f32 v[12:13], v[4:5], v[24:25], v[12:13]
	v_pk_fma_f32 v[16:17], v[10:11], v[24:25], v[16:17] neg_lo:[1,0,0] neg_hi:[1,0,0]
	s_delay_alu instid0(VALU_DEP_3) | instskip(SKIP_1) | instid1(VALU_DEP_3)
	v_pk_fma_f32 v[14:15], v[4:5], v[26:27], v[14:15]
	v_pk_fma_f32 v[18:19], v[10:11], v[26:27], v[18:19] neg_lo:[1,0,0] neg_hi:[1,0,0]
	v_dual_cndmask_b32 v13, v17, v13 :: v_dual_cndmask_b32 v12, v16, v12
	s_delay_alu instid0(VALU_DEP_2)
	v_dual_cndmask_b32 v15, v19, v15 :: v_dual_cndmask_b32 v14, v18, v14
	global_store_b128 v[20:21], v[12:15], off offset:-8
	s_wait_xcnt 0x0
	s_and_not1_b32 exec_lo, exec_lo, s5
	s_cbranch_execnz .LBB19_3
.LBB19_4:
	s_or_b32 exec_lo, exec_lo, s3
	s_mov_b32 s2, 0
.LBB19_5:
	s_delay_alu instid0(SALU_CYCLE_1)
	s_and_not1_b32 vcc_lo, exec_lo, s2
	s_cbranch_vccnz .LBB19_25
; %bb.6:
	v_cmp_lt_i64_e64 s2, s[12:13], 1
	s_and_b32 vcc_lo, exec_lo, s2
	s_cbranch_vccnz .LBB19_25
; %bb.7:
	s_load_b32 s0, s[0:1], 0xc5c
	v_min_i64 v[2:3], 0x10000, s[12:13]
	v_min_u64 v[4:5], 0x10000, s[12:13]
	v_dual_mov_b32 v1, 0 :: v_dual_lshlrev_b32 v12, 2, v0
	s_wait_xcnt 0x0
	s_and_b32 s1, s4, 0x7fffffff
	s_mov_b32 s3, 0
	s_sub_f32 s5, 1.0, s4
	v_dual_mov_b32 v13, v1 :: v_dual_mov_b32 v27, v1
	s_mov_b32 s17, s3
	s_mov_b32 s13, s3
	s_mov_b32 s15, s3
	s_delay_alu instid0(VALU_DEP_1) | instskip(SKIP_3) | instid1(SALU_CYCLE_1)
	v_add_nc_u64_e32 v[8:9], s[8:9], v[12:13]
	v_add_nc_u64_e32 v[10:11], s[10:11], v[12:13]
	s_wait_kmcnt 0x0
	s_and_b32 s2, s0, 0xffff
	s_lshl_b32 s12, s2, 1
	s_cmp_lt_f32 s1, 0.5
	v_add_nc_u64_e32 v[6:7], s[2:3], v[0:1]
	v_mad_nc_u64_u32 v[18:19], s2, 12, v[12:13]
	s_mul_i32 s14, s2, 3
	s_cselect_b32 s0, -1, 0
	s_lshl_b32 s16, s2, 3
	v_add_nc_u64_e32 v[14:15], s[12:13], v[0:1]
	v_add_nc_u64_e32 v[24:25], s[16:17], v[12:13]
	v_lshlrev_b32_e32 v26, 2, v6
	v_add_nc_u64_e32 v[12:13], s[14:15], v[0:1]
	s_mov_b64 s[12:13], 0
	v_add_nc_u64_e32 v[16:17], s[8:9], v[18:19]
	v_add_nc_u64_e32 v[18:19], s[10:11], v[18:19]
	;; [unrolled: 1-line block ×6, first 2 shown]
	s_lshl_b32 s8, s2, 2
	s_mov_b32 s9, s3
	s_lshl_b32 s10, s2, 4
	s_mov_b32 s11, s3
	s_branch .LBB19_9
.LBB19_8:                               ;   in Loop: Header=BB19_9 Depth=1
	s_wait_xcnt 0x0
	s_or_b32 exec_lo, exec_lo, s1
	s_add_nc_u64 s[12:13], s[12:13], s[8:9]
	v_add_nc_u64_e32 v[8:9], s[10:11], v[8:9]
	v_cmp_ge_i64_e32 vcc_lo, s[12:13], v[2:3]
	v_add_nc_u64_e32 v[10:11], s[10:11], v[10:11]
	v_add_nc_u64_e32 v[16:17], s[10:11], v[16:17]
	;; [unrolled: 1-line block ×7, first 2 shown]
	s_cbranch_vccnz .LBB19_25
.LBB19_9:                               ; =>This Inner Loop Header: Depth=1
	s_wait_loadcnt 0x0
	v_add_nc_u64_e32 v[28:29], s[12:13], v[0:1]
	v_mov_b32_e32 v30, 0
	s_delay_alu instid0(VALU_DEP_2)
	v_cmp_lt_u64_e32 vcc_lo, v[28:29], v[4:5]
	v_mov_b32_e32 v29, 0
	s_and_saveexec_b32 s1, vcc_lo
	s_cbranch_execz .LBB19_11
; %bb.10:                               ;   in Loop: Header=BB19_9 Depth=1
	v_add_nc_u64_e32 v[32:33], s[6:7], v[8:9]
	v_add_nc_u64_e32 v[34:35], s[6:7], v[10:11]
	global_load_b32 v29, v[32:33], off
	global_load_b32 v30, v[34:35], off
.LBB19_11:                              ;   in Loop: Header=BB19_9 Depth=1
	s_wait_xcnt 0x0
	s_or_b32 exec_lo, exec_lo, s1
	v_add_nc_u64_e32 v[32:33], s[12:13], v[6:7]
	v_dual_mov_b32 v28, 0 :: v_dual_mov_b32 v31, 0
	s_delay_alu instid0(VALU_DEP_2)
	v_cmp_lt_u64_e64 s1, v[32:33], v[4:5]
	v_mov_b32_e32 v32, 0
	s_and_saveexec_b32 s2, s1
	s_cbranch_execz .LBB19_13
; %bb.12:                               ;   in Loop: Header=BB19_9 Depth=1
	v_add_nc_u64_e32 v[34:35], s[6:7], v[20:21]
	v_add_nc_u64_e32 v[36:37], s[6:7], v[26:27]
	global_load_b32 v31, v[34:35], off
	global_load_b32 v32, v[36:37], off
.LBB19_13:                              ;   in Loop: Header=BB19_9 Depth=1
	s_wait_xcnt 0x0
	s_or_b32 exec_lo, exec_lo, s2
	v_add_nc_u64_e32 v[34:35], s[12:13], v[14:15]
	v_mov_b32_e32 v33, 0
	s_delay_alu instid0(VALU_DEP_2)
	v_cmp_lt_u64_e64 s2, v[34:35], v[4:5]
	s_and_saveexec_b32 s3, s2
	s_cbranch_execz .LBB19_15
; %bb.14:                               ;   in Loop: Header=BB19_9 Depth=1
	v_add_nc_u64_e32 v[34:35], s[6:7], v[22:23]
	v_add_nc_u64_e32 v[36:37], s[6:7], v[24:25]
	global_load_b32 v33, v[34:35], off
	global_load_b32 v28, v[36:37], off
.LBB19_15:                              ;   in Loop: Header=BB19_9 Depth=1
	s_wait_xcnt 0x0
	s_or_b32 exec_lo, exec_lo, s3
	v_add_nc_u64_e32 v[34:35], s[12:13], v[12:13]
	s_delay_alu instid0(VALU_DEP_1)
	v_cmp_lt_u64_e64 s3, v[34:35], v[4:5]
	v_dual_mov_b32 v35, 0 :: v_dual_mov_b32 v34, 0
	s_and_saveexec_b32 s14, s3
	s_cbranch_execnz .LBB19_20
; %bb.16:                               ;   in Loop: Header=BB19_9 Depth=1
	s_or_b32 exec_lo, exec_lo, s14
	s_and_saveexec_b32 s14, vcc_lo
	s_cbranch_execnz .LBB19_21
.LBB19_17:                              ;   in Loop: Header=BB19_9 Depth=1
	s_or_b32 exec_lo, exec_lo, s14
	s_and_saveexec_b32 s14, s1
	s_cbranch_execnz .LBB19_22
.LBB19_18:                              ;   in Loop: Header=BB19_9 Depth=1
	s_or_b32 exec_lo, exec_lo, s14
	s_and_saveexec_b32 s1, s2
	s_cbranch_execnz .LBB19_23
.LBB19_19:                              ;   in Loop: Header=BB19_9 Depth=1
	s_or_b32 exec_lo, exec_lo, s1
	s_and_saveexec_b32 s1, s3
	s_cbranch_execz .LBB19_8
	s_branch .LBB19_24
.LBB19_20:                              ;   in Loop: Header=BB19_9 Depth=1
	v_add_nc_u64_e32 v[36:37], s[6:7], v[16:17]
	v_add_nc_u64_e32 v[38:39], s[6:7], v[18:19]
	global_load_b32 v34, v[36:37], off
	global_load_b32 v35, v[38:39], off
	s_wait_xcnt 0x0
	s_or_b32 exec_lo, exec_lo, s14
	s_and_saveexec_b32 s14, vcc_lo
	s_cbranch_execz .LBB19_17
.LBB19_21:                              ;   in Loop: Header=BB19_9 Depth=1
	s_wait_loadcnt 0x0
	v_sub_f32_e32 v36, v30, v29
	s_delay_alu instid0(VALU_DEP_1) | instskip(SKIP_1) | instid1(VALU_DEP_2)
	v_dual_fmac_f32 v29, s4, v36 :: v_dual_fma_f32 v30, -s5, v36, v30
	v_add_nc_u64_e32 v[36:37], s[6:7], v[8:9]
	v_cndmask_b32_e64 v29, v30, v29, s0
	global_store_b32 v[36:37], v29, off
	s_wait_xcnt 0x0
	s_or_b32 exec_lo, exec_lo, s14
	s_and_saveexec_b32 s14, s1
	s_cbranch_execz .LBB19_18
.LBB19_22:                              ;   in Loop: Header=BB19_9 Depth=1
	s_wait_loadcnt 0x0
	v_sub_f32_e32 v29, v32, v31
	v_add_nc_u64_e32 v[36:37], s[6:7], v[20:21]
	s_delay_alu instid0(VALU_DEP_2) | instskip(NEXT) | instid1(VALU_DEP_1)
	v_dual_fmac_f32 v31, s4, v29 :: v_dual_fma_f32 v29, -s5, v29, v32
	v_cndmask_b32_e64 v29, v29, v31, s0
	global_store_b32 v[36:37], v29, off
	s_wait_xcnt 0x0
	s_or_b32 exec_lo, exec_lo, s14
	s_and_saveexec_b32 s1, s2
	s_cbranch_execz .LBB19_19
.LBB19_23:                              ;   in Loop: Header=BB19_9 Depth=1
	s_wait_loadcnt 0x0
	v_sub_f32_e32 v29, v28, v33
	s_delay_alu instid0(VALU_DEP_1) | instskip(SKIP_1) | instid1(VALU_DEP_2)
	v_dual_fmac_f32 v33, s4, v29 :: v_dual_fma_f32 v30, -s5, v29, v28
	v_add_nc_u64_e32 v[28:29], s[6:7], v[22:23]
	v_cndmask_b32_e64 v30, v30, v33, s0
	global_store_b32 v[28:29], v30, off
	s_wait_xcnt 0x0
	s_or_b32 exec_lo, exec_lo, s1
	s_and_saveexec_b32 s1, s3
	s_cbranch_execz .LBB19_8
.LBB19_24:                              ;   in Loop: Header=BB19_9 Depth=1
	s_wait_loadcnt 0x0
	v_sub_f32_e32 v28, v35, v34
	s_delay_alu instid0(VALU_DEP_1) | instskip(SKIP_1) | instid1(VALU_DEP_2)
	v_dual_fmac_f32 v34, s4, v28 :: v_dual_fma_f32 v30, -s5, v28, v35
	v_add_nc_u64_e32 v[28:29], s[6:7], v[16:17]
	v_cndmask_b32_e64 v30, v30, v34, s0
	global_store_b32 v[28:29], v30, off
	s_branch .LBB19_8
.LBB19_25:
	s_endpgm
	.section	.rodata,"a",@progbits
	.p2align	6, 0x0
	.amdhsa_kernel _ZN2at6native12_GLOBAL__N_125multi_tensor_apply_kernelINS1_18TensorListMetadataILi2EEENS1_22TernaryOpScalarFunctorIfLi2ELi2ELi0EEEJNS0_11LerpFunctorIfEEfEEEvT_T0_DpT1_
		.amdhsa_group_segment_fixed_size 0
		.amdhsa_private_segment_fixed_size 0
		.amdhsa_kernarg_size 3408
		.amdhsa_user_sgpr_count 2
		.amdhsa_user_sgpr_dispatch_ptr 0
		.amdhsa_user_sgpr_queue_ptr 0
		.amdhsa_user_sgpr_kernarg_segment_ptr 1
		.amdhsa_user_sgpr_dispatch_id 0
		.amdhsa_user_sgpr_kernarg_preload_length 0
		.amdhsa_user_sgpr_kernarg_preload_offset 0
		.amdhsa_user_sgpr_private_segment_size 0
		.amdhsa_wavefront_size32 1
		.amdhsa_uses_dynamic_stack 0
		.amdhsa_enable_private_segment 0
		.amdhsa_system_sgpr_workgroup_id_x 1
		.amdhsa_system_sgpr_workgroup_id_y 0
		.amdhsa_system_sgpr_workgroup_id_z 0
		.amdhsa_system_sgpr_workgroup_info 0
		.amdhsa_system_vgpr_workitem_id 0
		.amdhsa_next_free_vgpr 40
		.amdhsa_next_free_sgpr 22
		.amdhsa_named_barrier_count 0
		.amdhsa_reserve_vcc 1
		.amdhsa_float_round_mode_32 0
		.amdhsa_float_round_mode_16_64 0
		.amdhsa_float_denorm_mode_32 3
		.amdhsa_float_denorm_mode_16_64 3
		.amdhsa_fp16_overflow 0
		.amdhsa_memory_ordered 1
		.amdhsa_forward_progress 1
		.amdhsa_inst_pref_size 11
		.amdhsa_round_robin_scheduling 0
		.amdhsa_exception_fp_ieee_invalid_op 0
		.amdhsa_exception_fp_denorm_src 0
		.amdhsa_exception_fp_ieee_div_zero 0
		.amdhsa_exception_fp_ieee_overflow 0
		.amdhsa_exception_fp_ieee_underflow 0
		.amdhsa_exception_fp_ieee_inexact 0
		.amdhsa_exception_int_div_zero 0
	.end_amdhsa_kernel
	.section	.text._ZN2at6native12_GLOBAL__N_125multi_tensor_apply_kernelINS1_18TensorListMetadataILi2EEENS1_22TernaryOpScalarFunctorIfLi2ELi2ELi0EEEJNS0_11LerpFunctorIfEEfEEEvT_T0_DpT1_,"axG",@progbits,_ZN2at6native12_GLOBAL__N_125multi_tensor_apply_kernelINS1_18TensorListMetadataILi2EEENS1_22TernaryOpScalarFunctorIfLi2ELi2ELi0EEEJNS0_11LerpFunctorIfEEfEEEvT_T0_DpT1_,comdat
.Lfunc_end19:
	.size	_ZN2at6native12_GLOBAL__N_125multi_tensor_apply_kernelINS1_18TensorListMetadataILi2EEENS1_22TernaryOpScalarFunctorIfLi2ELi2ELi0EEEJNS0_11LerpFunctorIfEEfEEEvT_T0_DpT1_, .Lfunc_end19-_ZN2at6native12_GLOBAL__N_125multi_tensor_apply_kernelINS1_18TensorListMetadataILi2EEENS1_22TernaryOpScalarFunctorIfLi2ELi2ELi0EEEJNS0_11LerpFunctorIfEEfEEEvT_T0_DpT1_
                                        ; -- End function
	.set _ZN2at6native12_GLOBAL__N_125multi_tensor_apply_kernelINS1_18TensorListMetadataILi2EEENS1_22TernaryOpScalarFunctorIfLi2ELi2ELi0EEEJNS0_11LerpFunctorIfEEfEEEvT_T0_DpT1_.num_vgpr, 40
	.set _ZN2at6native12_GLOBAL__N_125multi_tensor_apply_kernelINS1_18TensorListMetadataILi2EEENS1_22TernaryOpScalarFunctorIfLi2ELi2ELi0EEEJNS0_11LerpFunctorIfEEfEEEvT_T0_DpT1_.num_agpr, 0
	.set _ZN2at6native12_GLOBAL__N_125multi_tensor_apply_kernelINS1_18TensorListMetadataILi2EEENS1_22TernaryOpScalarFunctorIfLi2ELi2ELi0EEEJNS0_11LerpFunctorIfEEfEEEvT_T0_DpT1_.numbered_sgpr, 22
	.set _ZN2at6native12_GLOBAL__N_125multi_tensor_apply_kernelINS1_18TensorListMetadataILi2EEENS1_22TernaryOpScalarFunctorIfLi2ELi2ELi0EEEJNS0_11LerpFunctorIfEEfEEEvT_T0_DpT1_.num_named_barrier, 0
	.set _ZN2at6native12_GLOBAL__N_125multi_tensor_apply_kernelINS1_18TensorListMetadataILi2EEENS1_22TernaryOpScalarFunctorIfLi2ELi2ELi0EEEJNS0_11LerpFunctorIfEEfEEEvT_T0_DpT1_.private_seg_size, 0
	.set _ZN2at6native12_GLOBAL__N_125multi_tensor_apply_kernelINS1_18TensorListMetadataILi2EEENS1_22TernaryOpScalarFunctorIfLi2ELi2ELi0EEEJNS0_11LerpFunctorIfEEfEEEvT_T0_DpT1_.uses_vcc, 1
	.set _ZN2at6native12_GLOBAL__N_125multi_tensor_apply_kernelINS1_18TensorListMetadataILi2EEENS1_22TernaryOpScalarFunctorIfLi2ELi2ELi0EEEJNS0_11LerpFunctorIfEEfEEEvT_T0_DpT1_.uses_flat_scratch, 0
	.set _ZN2at6native12_GLOBAL__N_125multi_tensor_apply_kernelINS1_18TensorListMetadataILi2EEENS1_22TernaryOpScalarFunctorIfLi2ELi2ELi0EEEJNS0_11LerpFunctorIfEEfEEEvT_T0_DpT1_.has_dyn_sized_stack, 0
	.set _ZN2at6native12_GLOBAL__N_125multi_tensor_apply_kernelINS1_18TensorListMetadataILi2EEENS1_22TernaryOpScalarFunctorIfLi2ELi2ELi0EEEJNS0_11LerpFunctorIfEEfEEEvT_T0_DpT1_.has_recursion, 0
	.set _ZN2at6native12_GLOBAL__N_125multi_tensor_apply_kernelINS1_18TensorListMetadataILi2EEENS1_22TernaryOpScalarFunctorIfLi2ELi2ELi0EEEJNS0_11LerpFunctorIfEEfEEEvT_T0_DpT1_.has_indirect_call, 0
	.section	.AMDGPU.csdata,"",@progbits
; Kernel info:
; codeLenInByte = 1368
; TotalNumSgprs: 24
; NumVgprs: 40
; ScratchSize: 0
; MemoryBound: 0
; FloatMode: 240
; IeeeMode: 1
; LDSByteSize: 0 bytes/workgroup (compile time only)
; SGPRBlocks: 0
; VGPRBlocks: 2
; NumSGPRsForWavesPerEU: 24
; NumVGPRsForWavesPerEU: 40
; NamedBarCnt: 0
; Occupancy: 16
; WaveLimiterHint : 0
; COMPUTE_PGM_RSRC2:SCRATCH_EN: 0
; COMPUTE_PGM_RSRC2:USER_SGPR: 2
; COMPUTE_PGM_RSRC2:TRAP_HANDLER: 0
; COMPUTE_PGM_RSRC2:TGID_X_EN: 1
; COMPUTE_PGM_RSRC2:TGID_Y_EN: 0
; COMPUTE_PGM_RSRC2:TGID_Z_EN: 0
; COMPUTE_PGM_RSRC2:TIDIG_COMP_CNT: 0
	.section	.text._ZN2at6native12_GLOBAL__N_125multi_tensor_apply_kernelINS1_18TensorListMetadataILi2EEENS1_22TernaryOpScalarFunctorIN3c107complexIdEELi2ELi2ELi0EEEJNS0_11LerpFunctorIS8_EES8_EEEvT_T0_DpT1_,"axG",@progbits,_ZN2at6native12_GLOBAL__N_125multi_tensor_apply_kernelINS1_18TensorListMetadataILi2EEENS1_22TernaryOpScalarFunctorIN3c107complexIdEELi2ELi2ELi0EEEJNS0_11LerpFunctorIS8_EES8_EEEvT_T0_DpT1_,comdat
	.globl	_ZN2at6native12_GLOBAL__N_125multi_tensor_apply_kernelINS1_18TensorListMetadataILi2EEENS1_22TernaryOpScalarFunctorIN3c107complexIdEELi2ELi2ELi0EEEJNS0_11LerpFunctorIS8_EES8_EEEvT_T0_DpT1_ ; -- Begin function _ZN2at6native12_GLOBAL__N_125multi_tensor_apply_kernelINS1_18TensorListMetadataILi2EEENS1_22TernaryOpScalarFunctorIN3c107complexIdEELi2ELi2ELi0EEEJNS0_11LerpFunctorIS8_EES8_EEEvT_T0_DpT1_
	.p2align	8
	.type	_ZN2at6native12_GLOBAL__N_125multi_tensor_apply_kernelINS1_18TensorListMetadataILi2EEENS1_22TernaryOpScalarFunctorIN3c107complexIdEELi2ELi2ELi0EEEJNS0_11LerpFunctorIS8_EES8_EEEvT_T0_DpT1_,@function
_ZN2at6native12_GLOBAL__N_125multi_tensor_apply_kernelINS1_18TensorListMetadataILi2EEENS1_22TernaryOpScalarFunctorIN3c107complexIdEELi2ELi2ELi0EEEJNS0_11LerpFunctorIS8_EES8_EEEvT_T0_DpT1_: ; @_ZN2at6native12_GLOBAL__N_125multi_tensor_apply_kernelINS1_18TensorListMetadataILi2EEENS1_22TernaryOpScalarFunctorIN3c107complexIdEELi2ELi2ELi0EEEJNS0_11LerpFunctorIS8_EES8_EEEvT_T0_DpT1_
; %bb.0:
	s_bfe_u32 s2, ttmp6, 0x4000c
	s_and_b32 s3, ttmp6, 15
	s_add_co_i32 s2, s2, 1
	s_getreg_b32 s4, hwreg(HW_REG_IB_STS2, 6, 4)
	s_mul_i32 s2, ttmp9, s2
	s_delay_alu instid0(SALU_CYCLE_1) | instskip(SKIP_3) | instid1(SALU_CYCLE_1)
	s_add_co_i32 s2, s3, s2
	s_cmp_eq_u32 s4, 0
	s_mov_b32 s3, 0
	s_cselect_b32 s2, ttmp9, s2
	s_add_nc_u64 s[4:5], s[0:1], s[2:3]
	s_mul_u64 s[6:7], s[2:3], 3
	s_delay_alu instid0(SALU_CYCLE_1)
	s_add_nc_u64 s[4:5], s[4:5], s[6:7]
	s_clause 0x1
	s_load_b32 s14, s[4:5], 0x740
	s_load_u8 s6, s[0:1], s2 offset:0x600
	s_wait_kmcnt 0x0
	s_clause 0x3
	s_load_b64 s[4:5], s[0:1], s6 offset:0x0 scale_offset
	s_load_b64 s[12:13], s[0:1], s6 offset:0x200 scale_offset
	;; [unrolled: 1-line block ×3, first 2 shown]
	s_load_b128 s[8:11], s[0:1], 0xc50
	s_ashr_i32 s15, s14, 31
	s_delay_alu instid0(SALU_CYCLE_1)
	s_lshl_b64 s[18:19], s[14:15], 20
	s_lshl_b64 s[14:15], s[14:15], 16
	s_wait_kmcnt 0x0
	s_add_nc_u64 s[6:7], s[4:5], s[18:19]
	s_add_nc_u64 s[12:13], s[12:13], s[18:19]
	s_and_b32 s4, s16, 3
	s_and_b64 s[18:19], s[12:13], 63
	s_mov_b32 s5, s3
	s_and_b32 s2, s6, 63
	s_or_b64 s[4:5], s[18:19], s[4:5]
	s_delay_alu instid0(SALU_CYCLE_1)
	s_or_b64 s[2:3], s[4:5], s[2:3]
	s_sub_nc_u64 s[4:5], s[16:17], s[14:15]
	s_cmp_eq_u64 s[2:3], 0
	s_mov_b32 s2, -1
	s_cbranch_scc0 .LBB20_21
; %bb.1:
	v_min_i64 v[38:39], 0x10000, s[4:5]
	v_dual_mov_b32 v41, 0 :: v_dual_lshlrev_b32 v40, 2, v0
	s_mov_b32 s3, exec_lo
	s_delay_alu instid0(VALU_DEP_1)
	v_cmpx_lt_i64_e64 v[40:41], v[38:39]
	s_cbranch_execz .LBB20_20
; %bb.2:
	v_mul_f64_e64 v[2:3], s[10:11], s[10:11]
	v_add_f64_e64 v[42:43], -s[8:9], 1.0
	v_add_f64_e64 v[44:45], -s[10:11], 0
	s_load_b32 s14, s[0:1], 0xc6c
	v_dual_mov_b32 v1, v41 :: v_dual_lshlrev_b32 v40, 6, v0
	s_mov_b32 s15, 0
	s_mov_b64 s[18:19], s[6:7]
	s_mov_b32 s17, s15
	s_delay_alu instid0(VALU_DEP_1) | instskip(SKIP_4) | instid1(SALU_CYCLE_1)
	v_mov_b64_e32 v[46:47], v[0:1]
	s_mov_b32 s22, s15
	s_mov_b64 s[20:21], s[12:13]
	s_wait_kmcnt 0x0
	s_and_b32 s14, s14, 0xffff
	s_lshl_b32 s16, s14, 6
	v_fmac_f64_e64 v[2:3], s[8:9], s[8:9]
	s_delay_alu instid0(VALU_DEP_1)
	v_cmp_ngt_f64_e64 s2, 0x3fd00000, v[2:3]
	s_branch .LBB20_4
.LBB20_3:                               ;   in Loop: Header=BB20_4 Depth=1
	v_add_nc_u64_e32 v[46:47], s[14:15], v[46:47]
	s_add_nc_u64 s[20:21], s[20:21], s[16:17]
	s_add_nc_u64 s[18:19], s[18:19], s[16:17]
	s_clause 0x3
	global_store_b128 v[48:49], v[2:5], off
	global_store_b128 v[48:49], v[18:21], off offset:16
	global_store_b128 v[48:49], v[26:29], off offset:32
	;; [unrolled: 1-line block ×3, first 2 shown]
	v_lshlrev_b64_e32 v[6:7], 2, v[46:47]
	s_delay_alu instid0(VALU_DEP_1)
	v_cmp_ge_i64_e32 vcc_lo, v[6:7], v[38:39]
	s_or_b32 s22, vcc_lo, s22
	s_wait_xcnt 0x0
	s_and_not1_b32 exec_lo, exec_lo, s22
	s_cbranch_execz .LBB20_20
.LBB20_4:                               ; =>This Inner Loop Header: Depth=1
	v_add_nc_u64_e32 v[2:3], s[20:21], v[40:41]
	v_add_nc_u64_e32 v[48:49], s[18:19], v[40:41]
	s_delay_alu instid0(VALU_DEP_3)
	s_and_b32 vcc_lo, exec_lo, s2
	s_mov_b32 s23, -1
	global_load_b128 v[34:37], v[2:3], off
	s_clause 0x1
	global_load_b128 v[18:21], v[48:49], off
	global_load_b128 v[26:29], v[48:49], off offset:16
	global_load_b128 v[30:33], v[2:3], off offset:16
	s_clause 0x1
	global_load_b128 v[6:9], v[48:49], off offset:48
	global_load_b128 v[14:17], v[48:49], off offset:32
	s_clause 0x1
	global_load_b128 v[10:13], v[2:3], off offset:48
	global_load_b128 v[22:25], v[2:3], off offset:32
                                        ; implicit-def: $vgpr4_vgpr5
	s_wait_loadcnt 0x6
	v_add_f64_e64 v[50:51], v[34:35], -v[18:19]
	v_add_f64_e64 v[52:53], v[36:37], -v[20:21]
	s_cbranch_vccz .LBB20_6
; %bb.5:                                ;   in Loop: Header=BB20_4 Depth=1
	s_wait_xcnt 0x0
	s_delay_alu instid0(VALU_DEP_1) | instskip(SKIP_2) | instid1(VALU_DEP_2)
	v_mul_f64_e32 v[2:3], v[44:45], v[52:53]
	v_mul_f64_e32 v[4:5], v[42:43], v[52:53]
	s_mov_b32 s23, 0
	v_fma_f64 v[2:3], v[42:43], v[50:51], -v[2:3]
	s_delay_alu instid0(VALU_DEP_2) | instskip(NEXT) | instid1(VALU_DEP_2)
	v_fmac_f64_e32 v[4:5], v[44:45], v[50:51]
	v_add_f64_e64 v[2:3], v[34:35], -v[2:3]
	s_delay_alu instid0(VALU_DEP_2)
	v_add_f64_e64 v[4:5], v[36:37], -v[4:5]
.LBB20_6:                               ;   in Loop: Header=BB20_4 Depth=1
	s_and_not1_b32 vcc_lo, exec_lo, s23
	s_cbranch_vccnz .LBB20_8
; %bb.7:                                ;   in Loop: Header=BB20_4 Depth=1
	s_wait_xcnt 0x0
	s_delay_alu instid0(VALU_DEP_1) | instskip(SKIP_1) | instid1(VALU_DEP_2)
	v_mul_f64_e32 v[2:3], s[10:11], v[52:53]
	v_mul_f64_e32 v[4:5], s[8:9], v[52:53]
	v_fma_f64 v[2:3], s[8:9], v[50:51], -v[2:3]
	s_delay_alu instid0(VALU_DEP_2) | instskip(NEXT) | instid1(VALU_DEP_2)
	v_fmac_f64_e32 v[4:5], s[10:11], v[50:51]
	v_add_f64_e32 v[2:3], v[18:19], v[2:3]
	s_delay_alu instid0(VALU_DEP_2)
	v_add_f64_e32 v[4:5], v[20:21], v[4:5]
.LBB20_8:                               ;   in Loop: Header=BB20_4 Depth=1
	s_wait_loadcnt 0x4
	v_add_f64_e64 v[34:35], v[30:31], -v[26:27]
	v_add_f64_e64 v[36:37], v[32:33], -v[28:29]
	s_and_not1_b32 vcc_lo, exec_lo, s2
	s_mov_b32 s23, -1
                                        ; implicit-def: $vgpr20_vgpr21
	s_cbranch_vccnz .LBB20_10
; %bb.9:                                ;   in Loop: Header=BB20_4 Depth=1
	s_delay_alu instid0(VALU_DEP_1) | instskip(SKIP_2) | instid1(VALU_DEP_2)
	v_mul_f64_e32 v[18:19], v[44:45], v[36:37]
	v_mul_f64_e32 v[20:21], v[42:43], v[36:37]
	s_mov_b32 s23, 0
	v_fma_f64 v[18:19], v[42:43], v[34:35], -v[18:19]
	s_delay_alu instid0(VALU_DEP_2) | instskip(NEXT) | instid1(VALU_DEP_2)
	v_fmac_f64_e32 v[20:21], v[44:45], v[34:35]
	v_add_f64_e64 v[18:19], v[30:31], -v[18:19]
	s_delay_alu instid0(VALU_DEP_2)
	v_add_f64_e64 v[20:21], v[32:33], -v[20:21]
.LBB20_10:                              ;   in Loop: Header=BB20_4 Depth=1
	s_and_not1_b32 vcc_lo, exec_lo, s23
	s_cbranch_vccnz .LBB20_12
; %bb.11:                               ;   in Loop: Header=BB20_4 Depth=1
	s_delay_alu instid0(VALU_DEP_1) | instskip(SKIP_1) | instid1(VALU_DEP_2)
	v_mul_f64_e32 v[18:19], s[10:11], v[36:37]
	v_mul_f64_e32 v[20:21], s[8:9], v[36:37]
	v_fma_f64 v[18:19], s[8:9], v[34:35], -v[18:19]
	s_delay_alu instid0(VALU_DEP_2) | instskip(NEXT) | instid1(VALU_DEP_2)
	v_fmac_f64_e32 v[20:21], s[10:11], v[34:35]
	v_add_f64_e32 v[18:19], v[26:27], v[18:19]
	s_delay_alu instid0(VALU_DEP_2)
	v_add_f64_e32 v[20:21], v[28:29], v[20:21]
.LBB20_12:                              ;   in Loop: Header=BB20_4 Depth=1
	s_wait_loadcnt 0x0
	v_add_f64_e64 v[30:31], v[22:23], -v[14:15]
	v_add_f64_e64 v[32:33], v[24:25], -v[16:17]
	s_and_not1_b32 vcc_lo, exec_lo, s2
	s_mov_b32 s23, -1
                                        ; implicit-def: $vgpr28_vgpr29
	s_cbranch_vccnz .LBB20_14
; %bb.13:                               ;   in Loop: Header=BB20_4 Depth=1
	s_delay_alu instid0(VALU_DEP_1) | instskip(SKIP_2) | instid1(VALU_DEP_2)
	v_mul_f64_e32 v[26:27], v[44:45], v[32:33]
	v_mul_f64_e32 v[28:29], v[42:43], v[32:33]
	s_mov_b32 s23, 0
	v_fma_f64 v[26:27], v[42:43], v[30:31], -v[26:27]
	s_delay_alu instid0(VALU_DEP_2) | instskip(NEXT) | instid1(VALU_DEP_2)
	v_fmac_f64_e32 v[28:29], v[44:45], v[30:31]
	v_add_f64_e64 v[26:27], v[22:23], -v[26:27]
	s_delay_alu instid0(VALU_DEP_2)
	v_add_f64_e64 v[28:29], v[24:25], -v[28:29]
.LBB20_14:                              ;   in Loop: Header=BB20_4 Depth=1
	s_and_not1_b32 vcc_lo, exec_lo, s23
	s_cbranch_vccnz .LBB20_16
; %bb.15:                               ;   in Loop: Header=BB20_4 Depth=1
	s_delay_alu instid0(VALU_DEP_1) | instskip(SKIP_1) | instid1(VALU_DEP_2)
	v_mul_f64_e32 v[22:23], s[10:11], v[32:33]
	v_mul_f64_e32 v[24:25], s[8:9], v[32:33]
	v_fma_f64 v[22:23], s[8:9], v[30:31], -v[22:23]
	s_delay_alu instid0(VALU_DEP_2) | instskip(NEXT) | instid1(VALU_DEP_2)
	v_fmac_f64_e32 v[24:25], s[10:11], v[30:31]
	v_add_f64_e32 v[26:27], v[14:15], v[22:23]
	s_delay_alu instid0(VALU_DEP_2)
	v_add_f64_e32 v[28:29], v[16:17], v[24:25]
.LBB20_16:                              ;   in Loop: Header=BB20_4 Depth=1
	v_add_f64_e64 v[22:23], v[10:11], -v[6:7]
	v_add_f64_e64 v[24:25], v[12:13], -v[8:9]
	s_and_not1_b32 vcc_lo, exec_lo, s2
	s_mov_b32 s23, -1
                                        ; implicit-def: $vgpr16_vgpr17
	s_cbranch_vccnz .LBB20_18
; %bb.17:                               ;   in Loop: Header=BB20_4 Depth=1
	s_delay_alu instid0(VALU_DEP_1) | instskip(SKIP_2) | instid1(VALU_DEP_2)
	v_mul_f64_e32 v[14:15], v[44:45], v[24:25]
	v_mul_f64_e32 v[16:17], v[42:43], v[24:25]
	s_mov_b32 s23, 0
	v_fma_f64 v[14:15], v[42:43], v[22:23], -v[14:15]
	s_delay_alu instid0(VALU_DEP_2) | instskip(NEXT) | instid1(VALU_DEP_2)
	v_fmac_f64_e32 v[16:17], v[44:45], v[22:23]
	v_add_f64_e64 v[14:15], v[10:11], -v[14:15]
	s_delay_alu instid0(VALU_DEP_2)
	v_add_f64_e64 v[16:17], v[12:13], -v[16:17]
.LBB20_18:                              ;   in Loop: Header=BB20_4 Depth=1
	s_and_not1_b32 vcc_lo, exec_lo, s23
	s_cbranch_vccnz .LBB20_3
; %bb.19:                               ;   in Loop: Header=BB20_4 Depth=1
	s_delay_alu instid0(VALU_DEP_1) | instskip(SKIP_1) | instid1(VALU_DEP_2)
	v_mul_f64_e32 v[10:11], s[10:11], v[24:25]
	v_mul_f64_e32 v[12:13], s[8:9], v[24:25]
	v_fma_f64 v[10:11], s[8:9], v[22:23], -v[10:11]
	s_delay_alu instid0(VALU_DEP_2) | instskip(NEXT) | instid1(VALU_DEP_2)
	v_fmac_f64_e32 v[12:13], s[10:11], v[22:23]
	v_add_f64_e32 v[14:15], v[6:7], v[10:11]
	s_delay_alu instid0(VALU_DEP_2)
	v_add_f64_e32 v[16:17], v[8:9], v[12:13]
	s_branch .LBB20_3
.LBB20_20:
	s_or_b32 exec_lo, exec_lo, s3
	s_mov_b32 s2, 0
.LBB20_21:
	s_delay_alu instid0(SALU_CYCLE_1)
	s_and_not1_b32 vcc_lo, exec_lo, s2
	s_cbranch_vccnz .LBB20_57
; %bb.22:
	v_cmp_lt_i64_e64 s2, s[4:5], 1
	s_and_b32 vcc_lo, exec_lo, s2
	s_cbranch_vccnz .LBB20_57
; %bb.23:
	v_mul_f64_e64 v[2:3], s[10:11], s[10:11]
	v_min_i64 v[38:39], 0x10000, s[4:5]
	v_min_u64 v[40:41], 0x10000, s[4:5]
	v_add_f64_e64 v[42:43], -s[8:9], 1.0
	v_add_f64_e64 v[44:45], -s[10:11], 0
	s_load_b32 s0, s[0:1], 0xc6c
	v_mov_b32_e32 v1, 0
	s_mov_b32 s15, 0
	s_mov_b64 s[20:21], 0
	s_mov_b32 s17, s15
	s_mov_b32 s19, s15
	;; [unrolled: 1-line block ×3, first 2 shown]
	s_wait_kmcnt 0x0
	s_and_b32 s14, s0, 0xffff
	s_delay_alu instid0(SALU_CYCLE_1) | instskip(SKIP_3) | instid1(VALU_DEP_1)
	s_lshl_b32 s16, s14, 1
	s_mul_i32 s18, s14, 3
	s_lshl_b32 s22, s14, 2
	v_fmac_f64_e64 v[2:3], s[8:9], s[8:9]
	v_cmp_ngt_f64_e64 s2, 0x3fd00000, v[2:3]
	s_branch .LBB20_25
.LBB20_24:                              ;   in Loop: Header=BB20_25 Depth=1
	s_wait_xcnt 0x0
	s_or_b32 exec_lo, exec_lo, s0
	s_add_nc_u64 s[20:21], s[20:21], s[22:23]
	s_delay_alu instid0(SALU_CYCLE_1)
	v_cmp_ge_i64_e32 vcc_lo, s[20:21], v[38:39]
	s_cbranch_vccnz .LBB20_57
.LBB20_25:                              ; =>This Inner Loop Header: Depth=1
	v_add_nc_u64_e32 v[46:47], s[20:21], v[0:1]
	v_mov_b64_e32 v[8:9], 0
	v_mov_b64_e32 v[36:37], 0
	;; [unrolled: 1-line block ×5, first 2 shown]
	v_cmp_lt_u64_e64 s0, v[46:47], v[40:41]
	s_and_saveexec_b32 s1, s0
	s_cbranch_execz .LBB20_27
; %bb.26:                               ;   in Loop: Header=BB20_25 Depth=1
	v_lshlrev_b64_e32 v[2:3], 4, v[46:47]
	s_delay_alu instid0(VALU_DEP_1)
	v_add_nc_u64_e32 v[4:5], s[6:7], v[2:3]
	v_add_nc_u64_e32 v[2:3], s[12:13], v[2:3]
	global_load_b128 v[22:25], v[4:5], off
	global_load_b128 v[34:37], v[2:3], off
.LBB20_27:                              ;   in Loop: Header=BB20_25 Depth=1
	s_wait_xcnt 0x0
	s_or_b32 exec_lo, exec_lo, s1
	v_add_nc_u64_e32 v[48:49], s[14:15], v[46:47]
	v_mov_b64_e32 v[6:7], 0
	v_mov_b64_e32 v[20:21], 0
	;; [unrolled: 1-line block ×3, first 2 shown]
	s_delay_alu instid0(VALU_DEP_4)
	v_cmp_lt_u64_e64 s1, v[48:49], v[40:41]
	s_and_saveexec_b32 s3, s1
	s_cbranch_execz .LBB20_29
; %bb.28:                               ;   in Loop: Header=BB20_25 Depth=1
	v_lshlrev_b64_e32 v[2:3], 4, v[48:49]
	s_delay_alu instid0(VALU_DEP_1)
	v_add_nc_u64_e32 v[4:5], s[6:7], v[2:3]
	v_add_nc_u64_e32 v[2:3], s[12:13], v[2:3]
	global_load_b128 v[18:21], v[4:5], off
	global_load_b128 v[6:9], v[2:3], off
.LBB20_29:                              ;   in Loop: Header=BB20_25 Depth=1
	s_wait_xcnt 0x0
	s_or_b32 exec_lo, exec_lo, s3
	v_add_nc_u64_e32 v[50:51], s[16:17], v[46:47]
	v_mov_b64_e32 v[4:5], 0
	v_mov_b64_e32 v[28:29], 0
	;; [unrolled: 1-line block ×5, first 2 shown]
	v_cmp_lt_u64_e64 s3, v[50:51], v[40:41]
	s_and_saveexec_b32 s4, s3
	s_cbranch_execz .LBB20_31
; %bb.30:                               ;   in Loop: Header=BB20_25 Depth=1
	v_lshlrev_b64_e32 v[2:3], 4, v[50:51]
	s_delay_alu instid0(VALU_DEP_1)
	v_add_nc_u64_e32 v[10:11], s[6:7], v[2:3]
	v_add_nc_u64_e32 v[2:3], s[12:13], v[2:3]
	global_load_b128 v[14:17], v[10:11], off
	global_load_b128 v[26:29], v[2:3], off
.LBB20_31:                              ;   in Loop: Header=BB20_25 Depth=1
	s_wait_xcnt 0x0
	s_or_b32 exec_lo, exec_lo, s4
	v_add_nc_u64_e32 v[52:53], s[18:19], v[46:47]
	v_mov_b64_e32 v[2:3], 0
	v_mov_b64_e32 v[12:13], 0
	;; [unrolled: 1-line block ×3, first 2 shown]
	s_delay_alu instid0(VALU_DEP_4)
	v_cmp_lt_u64_e64 s4, v[52:53], v[40:41]
	s_and_saveexec_b32 s5, s4
	s_cbranch_execz .LBB20_33
; %bb.32:                               ;   in Loop: Header=BB20_25 Depth=1
	v_lshlrev_b64_e32 v[2:3], 4, v[52:53]
	s_delay_alu instid0(VALU_DEP_1)
	v_add_nc_u64_e32 v[30:31], s[6:7], v[2:3]
	v_add_nc_u64_e32 v[32:33], s[12:13], v[2:3]
	global_load_b128 v[10:13], v[30:31], off
	global_load_b128 v[2:5], v[32:33], off
.LBB20_33:                              ;   in Loop: Header=BB20_25 Depth=1
	s_wait_xcnt 0x0
	s_or_b32 exec_lo, exec_lo, s5
	s_wait_loadcnt 0x0
	v_add_f64_e64 v[56:57], v[34:35], -v[22:23]
	v_add_f64_e64 v[54:55], v[36:37], -v[24:25]
	s_and_b32 vcc_lo, exec_lo, s2
	s_mov_b32 s5, -1
                                        ; implicit-def: $vgpr32_vgpr33
	s_cbranch_vccz .LBB20_35
; %bb.34:                               ;   in Loop: Header=BB20_25 Depth=1
	s_delay_alu instid0(VALU_DEP_1) | instskip(NEXT) | instid1(VALU_DEP_3)
	v_mul_f64_e32 v[30:31], v[44:45], v[54:55]
	v_mul_f64_e32 v[32:33], v[44:45], v[56:57]
	s_mov_b32 s5, 0
	s_delay_alu instid0(VALU_DEP_2) | instskip(NEXT) | instid1(VALU_DEP_2)
	v_fma_f64 v[30:31], v[42:43], v[56:57], -v[30:31]
	v_fmac_f64_e32 v[32:33], v[42:43], v[54:55]
	s_delay_alu instid0(VALU_DEP_2) | instskip(NEXT) | instid1(VALU_DEP_2)
	v_add_f64_e64 v[30:31], v[34:35], -v[30:31]
	v_add_f64_e64 v[32:33], v[36:37], -v[32:33]
.LBB20_35:                              ;   in Loop: Header=BB20_25 Depth=1
	s_and_not1_b32 vcc_lo, exec_lo, s5
	s_cbranch_vccnz .LBB20_37
; %bb.36:                               ;   in Loop: Header=BB20_25 Depth=1
	s_delay_alu instid0(VALU_DEP_1) | instskip(NEXT) | instid1(VALU_DEP_3)
	v_mul_f64_e32 v[30:31], s[10:11], v[54:55]
	v_mul_f64_e32 v[32:33], s[10:11], v[56:57]
	s_delay_alu instid0(VALU_DEP_2) | instskip(NEXT) | instid1(VALU_DEP_2)
	v_fma_f64 v[30:31], s[8:9], v[56:57], -v[30:31]
	v_fmac_f64_e32 v[32:33], s[8:9], v[54:55]
	s_delay_alu instid0(VALU_DEP_2) | instskip(NEXT) | instid1(VALU_DEP_2)
	v_add_f64_e32 v[30:31], v[22:23], v[30:31]
	v_add_f64_e32 v[32:33], v[24:25], v[32:33]
.LBB20_37:                              ;   in Loop: Header=BB20_25 Depth=1
	v_add_f64_e64 v[36:37], v[6:7], -v[18:19]
	v_add_f64_e64 v[34:35], v[8:9], -v[20:21]
	s_and_not1_b32 vcc_lo, exec_lo, s2
	s_mov_b32 s5, -1
                                        ; implicit-def: $vgpr24_vgpr25
	s_cbranch_vccnz .LBB20_39
; %bb.38:                               ;   in Loop: Header=BB20_25 Depth=1
	s_delay_alu instid0(VALU_DEP_1) | instskip(NEXT) | instid1(VALU_DEP_3)
	v_mul_f64_e32 v[22:23], v[44:45], v[34:35]
	v_mul_f64_e32 v[24:25], v[44:45], v[36:37]
	s_mov_b32 s5, 0
	s_delay_alu instid0(VALU_DEP_2) | instskip(NEXT) | instid1(VALU_DEP_2)
	v_fma_f64 v[22:23], v[42:43], v[36:37], -v[22:23]
	v_fmac_f64_e32 v[24:25], v[42:43], v[34:35]
	s_delay_alu instid0(VALU_DEP_2) | instskip(NEXT) | instid1(VALU_DEP_2)
	v_add_f64_e64 v[22:23], v[6:7], -v[22:23]
	v_add_f64_e64 v[24:25], v[8:9], -v[24:25]
.LBB20_39:                              ;   in Loop: Header=BB20_25 Depth=1
	s_and_not1_b32 vcc_lo, exec_lo, s5
	s_cbranch_vccnz .LBB20_41
; %bb.40:                               ;   in Loop: Header=BB20_25 Depth=1
	s_delay_alu instid0(VALU_DEP_1) | instskip(NEXT) | instid1(VALU_DEP_3)
	v_mul_f64_e32 v[6:7], s[10:11], v[34:35]
	v_mul_f64_e32 v[8:9], s[10:11], v[36:37]
	s_delay_alu instid0(VALU_DEP_2) | instskip(NEXT) | instid1(VALU_DEP_2)
	v_fma_f64 v[6:7], s[8:9], v[36:37], -v[6:7]
	v_fmac_f64_e32 v[8:9], s[8:9], v[34:35]
	s_delay_alu instid0(VALU_DEP_2) | instskip(NEXT) | instid1(VALU_DEP_2)
	v_add_f64_e32 v[22:23], v[18:19], v[6:7]
	v_add_f64_e32 v[24:25], v[20:21], v[8:9]
.LBB20_41:                              ;   in Loop: Header=BB20_25 Depth=1
	v_add_f64_e64 v[20:21], v[26:27], -v[14:15]
	v_add_f64_e64 v[18:19], v[28:29], -v[16:17]
	s_and_not1_b32 vcc_lo, exec_lo, s2
	s_mov_b32 s5, -1
                                        ; implicit-def: $vgpr8_vgpr9
	s_cbranch_vccnz .LBB20_43
; %bb.42:                               ;   in Loop: Header=BB20_25 Depth=1
	s_delay_alu instid0(VALU_DEP_1) | instskip(NEXT) | instid1(VALU_DEP_3)
	v_mul_f64_e32 v[6:7], v[44:45], v[18:19]
	v_mul_f64_e32 v[8:9], v[44:45], v[20:21]
	s_mov_b32 s5, 0
	s_delay_alu instid0(VALU_DEP_2) | instskip(NEXT) | instid1(VALU_DEP_2)
	v_fma_f64 v[6:7], v[42:43], v[20:21], -v[6:7]
	v_fmac_f64_e32 v[8:9], v[42:43], v[18:19]
	s_delay_alu instid0(VALU_DEP_2) | instskip(NEXT) | instid1(VALU_DEP_2)
	v_add_f64_e64 v[6:7], v[26:27], -v[6:7]
	v_add_f64_e64 v[8:9], v[28:29], -v[8:9]
.LBB20_43:                              ;   in Loop: Header=BB20_25 Depth=1
	s_and_not1_b32 vcc_lo, exec_lo, s5
	s_cbranch_vccnz .LBB20_45
; %bb.44:                               ;   in Loop: Header=BB20_25 Depth=1
	s_delay_alu instid0(VALU_DEP_1) | instskip(NEXT) | instid1(VALU_DEP_3)
	v_mul_f64_e32 v[6:7], s[10:11], v[18:19]
	v_mul_f64_e32 v[8:9], s[10:11], v[20:21]
	s_delay_alu instid0(VALU_DEP_2) | instskip(NEXT) | instid1(VALU_DEP_2)
	v_fma_f64 v[6:7], s[8:9], v[20:21], -v[6:7]
	v_fmac_f64_e32 v[8:9], s[8:9], v[18:19]
	s_delay_alu instid0(VALU_DEP_2) | instskip(NEXT) | instid1(VALU_DEP_2)
	v_add_f64_e32 v[6:7], v[14:15], v[6:7]
	v_add_f64_e32 v[8:9], v[16:17], v[8:9]
.LBB20_45:                              ;   in Loop: Header=BB20_25 Depth=1
	v_add_f64_e64 v[20:21], v[2:3], -v[10:11]
	v_add_f64_e64 v[18:19], v[4:5], -v[12:13]
	s_and_not1_b32 vcc_lo, exec_lo, s2
	s_mov_b32 s5, -1
                                        ; implicit-def: $vgpr16_vgpr17
	s_cbranch_vccz .LBB20_51
; %bb.46:                               ;   in Loop: Header=BB20_25 Depth=1
	s_and_not1_b32 vcc_lo, exec_lo, s5
	s_cbranch_vccz .LBB20_52
.LBB20_47:                              ;   in Loop: Header=BB20_25 Depth=1
	s_and_saveexec_b32 s5, s0
	s_delay_alu instid0(SALU_CYCLE_1)
	s_xor_b32 s0, exec_lo, s5
	s_cbranch_execnz .LBB20_53
.LBB20_48:                              ;   in Loop: Header=BB20_25 Depth=1
	s_or_b32 exec_lo, exec_lo, s0
	s_and_saveexec_b32 s0, s1
	s_cbranch_execnz .LBB20_54
.LBB20_49:                              ;   in Loop: Header=BB20_25 Depth=1
	s_or_b32 exec_lo, exec_lo, s0
	s_and_saveexec_b32 s0, s3
	s_cbranch_execnz .LBB20_55
.LBB20_50:                              ;   in Loop: Header=BB20_25 Depth=1
	s_or_b32 exec_lo, exec_lo, s0
	s_and_saveexec_b32 s0, s4
	s_cbranch_execz .LBB20_24
	s_branch .LBB20_56
.LBB20_51:                              ;   in Loop: Header=BB20_25 Depth=1
	s_delay_alu instid0(VALU_DEP_1) | instskip(NEXT) | instid1(VALU_DEP_3)
	v_mul_f64_e32 v[14:15], v[44:45], v[18:19]
	v_mul_f64_e32 v[16:17], v[44:45], v[20:21]
	s_delay_alu instid0(VALU_DEP_2) | instskip(NEXT) | instid1(VALU_DEP_2)
	v_fma_f64 v[14:15], v[42:43], v[20:21], -v[14:15]
	v_fmac_f64_e32 v[16:17], v[42:43], v[18:19]
	s_delay_alu instid0(VALU_DEP_2) | instskip(NEXT) | instid1(VALU_DEP_2)
	v_add_f64_e64 v[14:15], v[2:3], -v[14:15]
	v_add_f64_e64 v[16:17], v[4:5], -v[16:17]
	s_cbranch_execnz .LBB20_47
.LBB20_52:                              ;   in Loop: Header=BB20_25 Depth=1
	s_delay_alu instid0(VALU_DEP_1) | instskip(NEXT) | instid1(VALU_DEP_3)
	v_mul_f64_e32 v[2:3], s[10:11], v[18:19]
	v_mul_f64_e32 v[4:5], s[10:11], v[20:21]
	s_delay_alu instid0(VALU_DEP_2) | instskip(NEXT) | instid1(VALU_DEP_2)
	v_fma_f64 v[2:3], s[8:9], v[20:21], -v[2:3]
	v_fmac_f64_e32 v[4:5], s[8:9], v[18:19]
	s_delay_alu instid0(VALU_DEP_2) | instskip(NEXT) | instid1(VALU_DEP_2)
	v_add_f64_e32 v[14:15], v[10:11], v[2:3]
	v_add_f64_e32 v[16:17], v[12:13], v[4:5]
	s_and_saveexec_b32 s5, s0
	s_delay_alu instid0(SALU_CYCLE_1)
	s_xor_b32 s0, exec_lo, s5
	s_cbranch_execz .LBB20_48
.LBB20_53:                              ;   in Loop: Header=BB20_25 Depth=1
	v_lshl_add_u64 v[2:3], v[46:47], 4, s[6:7]
	global_store_b128 v[2:3], v[30:33], off
	s_wait_xcnt 0x0
	s_or_b32 exec_lo, exec_lo, s0
	s_and_saveexec_b32 s0, s1
	s_cbranch_execz .LBB20_49
.LBB20_54:                              ;   in Loop: Header=BB20_25 Depth=1
	v_lshl_add_u64 v[2:3], v[48:49], 4, s[6:7]
	global_store_b128 v[2:3], v[22:25], off
	s_wait_xcnt 0x0
	s_or_b32 exec_lo, exec_lo, s0
	s_and_saveexec_b32 s0, s3
	s_cbranch_execz .LBB20_50
.LBB20_55:                              ;   in Loop: Header=BB20_25 Depth=1
	v_lshl_add_u64 v[2:3], v[50:51], 4, s[6:7]
	global_store_b128 v[2:3], v[6:9], off
	s_wait_xcnt 0x0
	s_or_b32 exec_lo, exec_lo, s0
	s_and_saveexec_b32 s0, s4
	s_cbranch_execz .LBB20_24
.LBB20_56:                              ;   in Loop: Header=BB20_25 Depth=1
	v_lshl_add_u64 v[2:3], v[52:53], 4, s[6:7]
	global_store_b128 v[2:3], v[14:17], off
	s_branch .LBB20_24
.LBB20_57:
	s_endpgm
	.section	.rodata,"a",@progbits
	.p2align	6, 0x0
	.amdhsa_kernel _ZN2at6native12_GLOBAL__N_125multi_tensor_apply_kernelINS1_18TensorListMetadataILi2EEENS1_22TernaryOpScalarFunctorIN3c107complexIdEELi2ELi2ELi0EEEJNS0_11LerpFunctorIS8_EES8_EEEvT_T0_DpT1_
		.amdhsa_group_segment_fixed_size 0
		.amdhsa_private_segment_fixed_size 0
		.amdhsa_kernarg_size 3424
		.amdhsa_user_sgpr_count 2
		.amdhsa_user_sgpr_dispatch_ptr 0
		.amdhsa_user_sgpr_queue_ptr 0
		.amdhsa_user_sgpr_kernarg_segment_ptr 1
		.amdhsa_user_sgpr_dispatch_id 0
		.amdhsa_user_sgpr_kernarg_preload_length 0
		.amdhsa_user_sgpr_kernarg_preload_offset 0
		.amdhsa_user_sgpr_private_segment_size 0
		.amdhsa_wavefront_size32 1
		.amdhsa_uses_dynamic_stack 0
		.amdhsa_enable_private_segment 0
		.amdhsa_system_sgpr_workgroup_id_x 1
		.amdhsa_system_sgpr_workgroup_id_y 0
		.amdhsa_system_sgpr_workgroup_id_z 0
		.amdhsa_system_sgpr_workgroup_info 0
		.amdhsa_system_vgpr_workitem_id 0
		.amdhsa_next_free_vgpr 58
		.amdhsa_next_free_sgpr 24
		.amdhsa_named_barrier_count 0
		.amdhsa_reserve_vcc 1
		.amdhsa_float_round_mode_32 0
		.amdhsa_float_round_mode_16_64 0
		.amdhsa_float_denorm_mode_32 3
		.amdhsa_float_denorm_mode_16_64 3
		.amdhsa_fp16_overflow 0
		.amdhsa_memory_ordered 1
		.amdhsa_forward_progress 1
		.amdhsa_inst_pref_size 19
		.amdhsa_round_robin_scheduling 0
		.amdhsa_exception_fp_ieee_invalid_op 0
		.amdhsa_exception_fp_denorm_src 0
		.amdhsa_exception_fp_ieee_div_zero 0
		.amdhsa_exception_fp_ieee_overflow 0
		.amdhsa_exception_fp_ieee_underflow 0
		.amdhsa_exception_fp_ieee_inexact 0
		.amdhsa_exception_int_div_zero 0
	.end_amdhsa_kernel
	.section	.text._ZN2at6native12_GLOBAL__N_125multi_tensor_apply_kernelINS1_18TensorListMetadataILi2EEENS1_22TernaryOpScalarFunctorIN3c107complexIdEELi2ELi2ELi0EEEJNS0_11LerpFunctorIS8_EES8_EEEvT_T0_DpT1_,"axG",@progbits,_ZN2at6native12_GLOBAL__N_125multi_tensor_apply_kernelINS1_18TensorListMetadataILi2EEENS1_22TernaryOpScalarFunctorIN3c107complexIdEELi2ELi2ELi0EEEJNS0_11LerpFunctorIS8_EES8_EEEvT_T0_DpT1_,comdat
.Lfunc_end20:
	.size	_ZN2at6native12_GLOBAL__N_125multi_tensor_apply_kernelINS1_18TensorListMetadataILi2EEENS1_22TernaryOpScalarFunctorIN3c107complexIdEELi2ELi2ELi0EEEJNS0_11LerpFunctorIS8_EES8_EEEvT_T0_DpT1_, .Lfunc_end20-_ZN2at6native12_GLOBAL__N_125multi_tensor_apply_kernelINS1_18TensorListMetadataILi2EEENS1_22TernaryOpScalarFunctorIN3c107complexIdEELi2ELi2ELi0EEEJNS0_11LerpFunctorIS8_EES8_EEEvT_T0_DpT1_
                                        ; -- End function
	.set _ZN2at6native12_GLOBAL__N_125multi_tensor_apply_kernelINS1_18TensorListMetadataILi2EEENS1_22TernaryOpScalarFunctorIN3c107complexIdEELi2ELi2ELi0EEEJNS0_11LerpFunctorIS8_EES8_EEEvT_T0_DpT1_.num_vgpr, 58
	.set _ZN2at6native12_GLOBAL__N_125multi_tensor_apply_kernelINS1_18TensorListMetadataILi2EEENS1_22TernaryOpScalarFunctorIN3c107complexIdEELi2ELi2ELi0EEEJNS0_11LerpFunctorIS8_EES8_EEEvT_T0_DpT1_.num_agpr, 0
	.set _ZN2at6native12_GLOBAL__N_125multi_tensor_apply_kernelINS1_18TensorListMetadataILi2EEENS1_22TernaryOpScalarFunctorIN3c107complexIdEELi2ELi2ELi0EEEJNS0_11LerpFunctorIS8_EES8_EEEvT_T0_DpT1_.numbered_sgpr, 24
	.set _ZN2at6native12_GLOBAL__N_125multi_tensor_apply_kernelINS1_18TensorListMetadataILi2EEENS1_22TernaryOpScalarFunctorIN3c107complexIdEELi2ELi2ELi0EEEJNS0_11LerpFunctorIS8_EES8_EEEvT_T0_DpT1_.num_named_barrier, 0
	.set _ZN2at6native12_GLOBAL__N_125multi_tensor_apply_kernelINS1_18TensorListMetadataILi2EEENS1_22TernaryOpScalarFunctorIN3c107complexIdEELi2ELi2ELi0EEEJNS0_11LerpFunctorIS8_EES8_EEEvT_T0_DpT1_.private_seg_size, 0
	.set _ZN2at6native12_GLOBAL__N_125multi_tensor_apply_kernelINS1_18TensorListMetadataILi2EEENS1_22TernaryOpScalarFunctorIN3c107complexIdEELi2ELi2ELi0EEEJNS0_11LerpFunctorIS8_EES8_EEEvT_T0_DpT1_.uses_vcc, 1
	.set _ZN2at6native12_GLOBAL__N_125multi_tensor_apply_kernelINS1_18TensorListMetadataILi2EEENS1_22TernaryOpScalarFunctorIN3c107complexIdEELi2ELi2ELi0EEEJNS0_11LerpFunctorIS8_EES8_EEEvT_T0_DpT1_.uses_flat_scratch, 0
	.set _ZN2at6native12_GLOBAL__N_125multi_tensor_apply_kernelINS1_18TensorListMetadataILi2EEENS1_22TernaryOpScalarFunctorIN3c107complexIdEELi2ELi2ELi0EEEJNS0_11LerpFunctorIS8_EES8_EEEvT_T0_DpT1_.has_dyn_sized_stack, 0
	.set _ZN2at6native12_GLOBAL__N_125multi_tensor_apply_kernelINS1_18TensorListMetadataILi2EEENS1_22TernaryOpScalarFunctorIN3c107complexIdEELi2ELi2ELi0EEEJNS0_11LerpFunctorIS8_EES8_EEEvT_T0_DpT1_.has_recursion, 0
	.set _ZN2at6native12_GLOBAL__N_125multi_tensor_apply_kernelINS1_18TensorListMetadataILi2EEENS1_22TernaryOpScalarFunctorIN3c107complexIdEELi2ELi2ELi0EEEJNS0_11LerpFunctorIS8_EES8_EEEvT_T0_DpT1_.has_indirect_call, 0
	.section	.AMDGPU.csdata,"",@progbits
; Kernel info:
; codeLenInByte = 2352
; TotalNumSgprs: 26
; NumVgprs: 58
; ScratchSize: 0
; MemoryBound: 1
; FloatMode: 240
; IeeeMode: 1
; LDSByteSize: 0 bytes/workgroup (compile time only)
; SGPRBlocks: 0
; VGPRBlocks: 3
; NumSGPRsForWavesPerEU: 26
; NumVGPRsForWavesPerEU: 58
; NamedBarCnt: 0
; Occupancy: 16
; WaveLimiterHint : 0
; COMPUTE_PGM_RSRC2:SCRATCH_EN: 0
; COMPUTE_PGM_RSRC2:USER_SGPR: 2
; COMPUTE_PGM_RSRC2:TRAP_HANDLER: 0
; COMPUTE_PGM_RSRC2:TGID_X_EN: 1
; COMPUTE_PGM_RSRC2:TGID_Y_EN: 0
; COMPUTE_PGM_RSRC2:TGID_Z_EN: 0
; COMPUTE_PGM_RSRC2:TIDIG_COMP_CNT: 0
	.section	.text._ZN2at6native12_GLOBAL__N_125multi_tensor_apply_kernelINS1_18TensorListMetadataILi2EEENS1_22TernaryOpScalarFunctorIN3c107complexIfEELi2ELi2ELi0EEEJNS0_11LerpFunctorIS8_EES8_EEEvT_T0_DpT1_,"axG",@progbits,_ZN2at6native12_GLOBAL__N_125multi_tensor_apply_kernelINS1_18TensorListMetadataILi2EEENS1_22TernaryOpScalarFunctorIN3c107complexIfEELi2ELi2ELi0EEEJNS0_11LerpFunctorIS8_EES8_EEEvT_T0_DpT1_,comdat
	.globl	_ZN2at6native12_GLOBAL__N_125multi_tensor_apply_kernelINS1_18TensorListMetadataILi2EEENS1_22TernaryOpScalarFunctorIN3c107complexIfEELi2ELi2ELi0EEEJNS0_11LerpFunctorIS8_EES8_EEEvT_T0_DpT1_ ; -- Begin function _ZN2at6native12_GLOBAL__N_125multi_tensor_apply_kernelINS1_18TensorListMetadataILi2EEENS1_22TernaryOpScalarFunctorIN3c107complexIfEELi2ELi2ELi0EEEJNS0_11LerpFunctorIS8_EES8_EEEvT_T0_DpT1_
	.p2align	8
	.type	_ZN2at6native12_GLOBAL__N_125multi_tensor_apply_kernelINS1_18TensorListMetadataILi2EEENS1_22TernaryOpScalarFunctorIN3c107complexIfEELi2ELi2ELi0EEEJNS0_11LerpFunctorIS8_EES8_EEEvT_T0_DpT1_,@function
_ZN2at6native12_GLOBAL__N_125multi_tensor_apply_kernelINS1_18TensorListMetadataILi2EEENS1_22TernaryOpScalarFunctorIN3c107complexIfEELi2ELi2ELi0EEEJNS0_11LerpFunctorIS8_EES8_EEEvT_T0_DpT1_: ; @_ZN2at6native12_GLOBAL__N_125multi_tensor_apply_kernelINS1_18TensorListMetadataILi2EEENS1_22TernaryOpScalarFunctorIN3c107complexIfEELi2ELi2ELi0EEEJNS0_11LerpFunctorIS8_EES8_EEEvT_T0_DpT1_
; %bb.0:
	s_bfe_u32 s2, ttmp6, 0x4000c
	s_and_b32 s3, ttmp6, 15
	s_add_co_i32 s2, s2, 1
	s_getreg_b32 s4, hwreg(HW_REG_IB_STS2, 6, 4)
	s_mul_i32 s2, ttmp9, s2
	s_delay_alu instid0(SALU_CYCLE_1)
	s_add_co_i32 s3, s3, s2
	s_cmp_eq_u32 s4, 0
	s_cselect_b32 s2, ttmp9, s3
	s_mov_b32 s3, 0
	s_load_u8 s11, s[0:1], s2 offset:0x600
	s_add_nc_u64 s[4:5], s[0:1], s[2:3]
	s_mul_u64 s[6:7], s[2:3], 3
	s_mov_b32 s15, s3
	s_add_nc_u64 s[8:9], s[4:5], s[6:7]
	s_load_b32 s10, s[8:9], 0x740
	s_wait_kmcnt 0x0
	s_clause 0x3
	s_load_b64 s[4:5], s[0:1], s11 offset:0x0 scale_offset
	s_load_b64 s[18:19], s[0:1], s11 offset:0x200 scale_offset
	s_load_b64 s[12:13], s[0:1], s11 offset:0x400 scale_offset
	s_load_b64 s[6:7], s[0:1], 0xc50
	s_wait_xcnt 0x0
	s_ashr_i32 s11, s10, 31
	s_delay_alu instid0(SALU_CYCLE_1)
	s_lshl_b64 s[8:9], s[10:11], 19
	s_wait_kmcnt 0x0
	s_and_b64 s[20:21], s[18:19], 31
	s_add_nc_u64 s[16:17], s[4:5], s[8:9]
	s_and_b32 s14, s12, 3
	s_and_b32 s2, s16, 31
	s_or_b64 s[14:15], s[20:21], s[14:15]
	s_lshl_b64 s[10:11], s[10:11], 16
	s_or_b64 s[2:3], s[14:15], s[2:3]
	s_sub_nc_u64 s[10:11], s[12:13], s[10:11]
	s_cmp_eq_u64 s[2:3], 0
	s_mov_b32 s2, -1
	s_cbranch_scc0 .LBB21_21
; %bb.1:
	v_min_i64 v[22:23], 0x10000, s[10:11]
	v_dual_mov_b32 v3, 0 :: v_dual_lshlrev_b32 v2, 2, v0
	s_mov_b32 s3, exec_lo
	s_delay_alu instid0(VALU_DEP_1)
	v_cmpx_lt_i64_e64 v[2:3], v[22:23]
	s_cbranch_execz .LBB21_20
; %bb.2:
	s_load_b32 s12, s[0:1], 0xc64
	v_mov_b64_e32 v[4:5], s[6:7]
	v_dual_mov_b32 v1, v3 :: v_dual_lshlrev_b32 v2, 5, v0
	s_mov_b32 s13, 0
	s_mov_b32 s14, s7
	;; [unrolled: 1-line block ×3, first 2 shown]
	s_delay_alu instid0(VALU_DEP_1) | instskip(NEXT) | instid1(VALU_DEP_3)
	v_mov_b64_e32 v[28:29], v[0:1]
	v_pk_mul_f32 v[6:7], v[4:5], v[4:5]
	v_pk_add_f32 v[24:25], v[4:5], 1.0 neg_lo:[1,0] neg_hi:[1,0]
	v_add_nc_u64_e32 v[26:27], s[8:9], v[2:3]
	s_mov_b32 s17, s13
	s_mov_b32 s20, s13
	s_delay_alu instid0(VALU_DEP_2) | instskip(SKIP_1) | instid1(VALU_DEP_2)
	v_dual_add_f32 v4, v6, v7 :: v_dual_mov_b32 v30, v25
	v_mov_b32_e32 v31, v24
	v_cmp_ngt_f32_e64 s2, 0x3e800000, v4
	s_wait_kmcnt 0x0
	s_and_b32 s12, s12, 0xffff
	s_delay_alu instid0(SALU_CYCLE_1)
	s_lshl_b32 s16, s12, 5
	s_branch .LBB21_4
.LBB21_3:                               ;   in Loop: Header=BB21_4 Depth=1
	v_add_nc_u64_e32 v[28:29], s[12:13], v[28:29]
	v_add_nc_u64_e32 v[26:27], s[16:17], v[26:27]
	s_clause 0x1
	global_store_b128 v[32:33], v[6:9], off
	global_store_b128 v[32:33], v[14:17], off offset:16
	v_lshlrev_b64_e32 v[2:3], 2, v[28:29]
	s_delay_alu instid0(VALU_DEP_1)
	v_cmp_ge_i64_e32 vcc_lo, v[2:3], v[22:23]
	s_or_b32 s20, vcc_lo, s20
	s_wait_xcnt 0x0
	s_and_not1_b32 exec_lo, exec_lo, s20
	s_cbranch_execz .LBB21_20
.LBB21_4:                               ; =>This Inner Loop Header: Depth=1
	v_add_nc_u64_e32 v[6:7], s[18:19], v[26:27]
	v_add_nc_u64_e32 v[32:33], s[4:5], v[26:27]
	s_and_b32 vcc_lo, exec_lo, s2
	s_mov_b32 s21, -1
	global_load_b128 v[18:21], v[6:7], off
	s_clause 0x1
	global_load_b128 v[14:17], v[32:33], off
	global_load_b128 v[2:5], v[32:33], off offset:16
	global_load_b128 v[10:13], v[6:7], off offset:16
                                        ; implicit-def: $vgpr6_vgpr7
	s_wait_loadcnt 0x2
	v_pk_add_f32 v[8:9], v[18:19], v[14:15] neg_lo:[0,1] neg_hi:[0,1]
	s_cbranch_vccz .LBB21_8
; %bb.5:                                ;   in Loop: Header=BB21_4 Depth=1
	s_wait_xcnt 0x0
	s_delay_alu instid0(VALU_DEP_1) | instskip(NEXT) | instid1(VALU_DEP_1)
	v_pk_mul_f32 v[6:7], v[30:31], v[8:9] op_sel:[0,1]
	v_pk_fma_f32 v[34:35], v[24:25], v[8:9], v[6:7] op_sel_hi:[1,0,1]
	v_pk_fma_f32 v[6:7], v[24:25], v[8:9], v[6:7] neg_lo:[0,0,1] neg_hi:[0,0,1]
	s_delay_alu instid0(VALU_DEP_2) | instskip(NEXT) | instid1(VALU_DEP_1)
	v_mov_b32_e32 v7, v35
	v_pk_add_f32 v[6:7], v[18:19], v[6:7] neg_lo:[0,1] neg_hi:[0,1]
	s_cbranch_execz .LBB21_9
.LBB21_6:                               ;   in Loop: Header=BB21_4 Depth=1
	v_pk_add_f32 v[14:15], v[20:21], v[16:17] neg_lo:[0,1] neg_hi:[0,1]
	s_and_not1_b32 vcc_lo, exec_lo, s2
	s_mov_b32 s21, -1
	s_cbranch_vccnz .LBB21_10
.LBB21_7:                               ;   in Loop: Header=BB21_4 Depth=1
	s_delay_alu instid0(VALU_DEP_1) | instskip(NEXT) | instid1(VALU_DEP_1)
	v_pk_mul_f32 v[8:9], v[30:31], v[14:15] op_sel:[0,1]
	v_pk_fma_f32 v[18:19], v[24:25], v[14:15], v[8:9] op_sel_hi:[1,0,1]
	v_pk_fma_f32 v[8:9], v[24:25], v[14:15], v[8:9] neg_lo:[0,0,1] neg_hi:[0,0,1]
	s_delay_alu instid0(VALU_DEP_2) | instskip(NEXT) | instid1(VALU_DEP_1)
	v_mov_b32_e32 v9, v19
	v_pk_add_f32 v[8:9], v[20:21], v[8:9] neg_lo:[0,1] neg_hi:[0,1]
	s_cbranch_execnz .LBB21_12
	s_branch .LBB21_11
.LBB21_8:                               ;   in Loop: Header=BB21_4 Depth=1
	s_and_not1_b32 vcc_lo, exec_lo, s21
	s_cbranch_vccnz .LBB21_6
.LBB21_9:                               ;   in Loop: Header=BB21_4 Depth=1
	s_wait_xcnt 0x0
	v_mov_b64_e32 v[6:7], s[14:15]
	v_mov_b64_e32 v[18:19], s[6:7]
	s_delay_alu instid0(VALU_DEP_2) | instskip(NEXT) | instid1(VALU_DEP_1)
	v_pk_mul_f32 v[6:7], v[8:9], v[6:7] op_sel:[1,0]
	v_pk_fma_f32 v[34:35], v[8:9], v[18:19], v[6:7] op_sel_hi:[0,1,1]
	v_pk_fma_f32 v[6:7], v[8:9], v[18:19], v[6:7] neg_lo:[0,0,1] neg_hi:[0,0,1]
	s_delay_alu instid0(VALU_DEP_2) | instskip(NEXT) | instid1(VALU_DEP_1)
	v_mov_b32_e32 v7, v35
	v_pk_add_f32 v[6:7], v[14:15], v[6:7]
	v_pk_add_f32 v[14:15], v[20:21], v[16:17] neg_lo:[0,1] neg_hi:[0,1]
	s_and_not1_b32 vcc_lo, exec_lo, s2
	s_mov_b32 s21, -1
	s_cbranch_vccz .LBB21_7
.LBB21_10:                              ;   in Loop: Header=BB21_4 Depth=1
	s_and_not1_b32 vcc_lo, exec_lo, s21
	s_cbranch_vccnz .LBB21_12
.LBB21_11:                              ;   in Loop: Header=BB21_4 Depth=1
	v_mov_b64_e32 v[8:9], s[14:15]
	v_mov_b64_e32 v[18:19], s[6:7]
	s_delay_alu instid0(VALU_DEP_2) | instskip(NEXT) | instid1(VALU_DEP_1)
	v_pk_mul_f32 v[8:9], v[14:15], v[8:9] op_sel:[1,0]
	v_pk_fma_f32 v[20:21], v[14:15], v[18:19], v[8:9] op_sel_hi:[0,1,1]
	v_pk_fma_f32 v[8:9], v[14:15], v[18:19], v[8:9] neg_lo:[0,0,1] neg_hi:[0,0,1]
	s_delay_alu instid0(VALU_DEP_2) | instskip(NEXT) | instid1(VALU_DEP_1)
	v_mov_b32_e32 v9, v21
	v_pk_add_f32 v[8:9], v[16:17], v[8:9]
.LBB21_12:                              ;   in Loop: Header=BB21_4 Depth=1
	s_wait_loadcnt 0x0
	v_pk_add_f32 v[16:17], v[10:11], v[2:3] neg_lo:[0,1] neg_hi:[0,1]
	s_and_not1_b32 vcc_lo, exec_lo, s2
	s_mov_b32 s21, -1
                                        ; implicit-def: $vgpr14_vgpr15
	s_cbranch_vccnz .LBB21_16
; %bb.13:                               ;   in Loop: Header=BB21_4 Depth=1
	s_delay_alu instid0(VALU_DEP_1) | instskip(NEXT) | instid1(VALU_DEP_1)
	v_pk_mul_f32 v[14:15], v[30:31], v[16:17] op_sel:[0,1]
	v_pk_fma_f32 v[18:19], v[24:25], v[16:17], v[14:15] op_sel_hi:[1,0,1]
	v_pk_fma_f32 v[14:15], v[24:25], v[16:17], v[14:15] neg_lo:[0,0,1] neg_hi:[0,0,1]
	s_delay_alu instid0(VALU_DEP_2) | instskip(NEXT) | instid1(VALU_DEP_1)
	v_mov_b32_e32 v15, v19
	v_pk_add_f32 v[14:15], v[10:11], v[14:15] neg_lo:[0,1] neg_hi:[0,1]
	s_cbranch_execz .LBB21_17
.LBB21_14:                              ;   in Loop: Header=BB21_4 Depth=1
	v_pk_add_f32 v[2:3], v[12:13], v[4:5] neg_lo:[0,1] neg_hi:[0,1]
	s_and_not1_b32 vcc_lo, exec_lo, s2
	s_mov_b32 s21, -1
	s_cbranch_vccnz .LBB21_18
.LBB21_15:                              ;   in Loop: Header=BB21_4 Depth=1
	s_delay_alu instid0(VALU_DEP_1) | instskip(NEXT) | instid1(VALU_DEP_1)
	v_pk_mul_f32 v[10:11], v[30:31], v[2:3] op_sel:[0,1]
	v_pk_fma_f32 v[16:17], v[24:25], v[2:3], v[10:11] op_sel_hi:[1,0,1]
	v_pk_fma_f32 v[10:11], v[24:25], v[2:3], v[10:11] neg_lo:[0,0,1] neg_hi:[0,0,1]
	s_delay_alu instid0(VALU_DEP_2) | instskip(NEXT) | instid1(VALU_DEP_1)
	v_mov_b32_e32 v11, v17
	v_pk_add_f32 v[16:17], v[12:13], v[10:11] neg_lo:[0,1] neg_hi:[0,1]
	s_cbranch_execnz .LBB21_3
	s_branch .LBB21_19
.LBB21_16:                              ;   in Loop: Header=BB21_4 Depth=1
	s_and_not1_b32 vcc_lo, exec_lo, s21
	s_cbranch_vccnz .LBB21_14
.LBB21_17:                              ;   in Loop: Header=BB21_4 Depth=1
	v_mov_b64_e32 v[10:11], s[14:15]
	v_mov_b64_e32 v[14:15], s[6:7]
	s_delay_alu instid0(VALU_DEP_2) | instskip(NEXT) | instid1(VALU_DEP_1)
	v_pk_mul_f32 v[10:11], v[16:17], v[10:11] op_sel:[1,0]
	v_pk_fma_f32 v[18:19], v[16:17], v[14:15], v[10:11] op_sel_hi:[0,1,1]
	v_pk_fma_f32 v[10:11], v[16:17], v[14:15], v[10:11] neg_lo:[0,0,1] neg_hi:[0,0,1]
	s_delay_alu instid0(VALU_DEP_2) | instskip(NEXT) | instid1(VALU_DEP_1)
	v_mov_b32_e32 v11, v19
	v_pk_add_f32 v[14:15], v[2:3], v[10:11]
	v_pk_add_f32 v[2:3], v[12:13], v[4:5] neg_lo:[0,1] neg_hi:[0,1]
	s_and_not1_b32 vcc_lo, exec_lo, s2
	s_mov_b32 s21, -1
	s_cbranch_vccz .LBB21_15
.LBB21_18:                              ;   in Loop: Header=BB21_4 Depth=1
	s_and_not1_b32 vcc_lo, exec_lo, s21
	s_cbranch_vccnz .LBB21_3
.LBB21_19:                              ;   in Loop: Header=BB21_4 Depth=1
	v_mov_b64_e32 v[10:11], s[14:15]
	v_mov_b64_e32 v[12:13], s[6:7]
	s_delay_alu instid0(VALU_DEP_2) | instskip(NEXT) | instid1(VALU_DEP_1)
	v_pk_mul_f32 v[10:11], v[2:3], v[10:11] op_sel:[1,0]
	v_pk_fma_f32 v[16:17], v[2:3], v[12:13], v[10:11] op_sel_hi:[0,1,1]
	v_pk_fma_f32 v[2:3], v[2:3], v[12:13], v[10:11] neg_lo:[0,0,1] neg_hi:[0,0,1]
	s_delay_alu instid0(VALU_DEP_2) | instskip(NEXT) | instid1(VALU_DEP_1)
	v_mov_b32_e32 v3, v17
	v_pk_add_f32 v[16:17], v[4:5], v[2:3]
	s_branch .LBB21_3
.LBB21_20:
	s_or_b32 exec_lo, exec_lo, s3
	s_mov_b32 s2, 0
.LBB21_21:
	s_delay_alu instid0(SALU_CYCLE_1)
	s_and_not1_b32 vcc_lo, exec_lo, s2
	s_cbranch_vccnz .LBB21_57
; %bb.22:
	v_cmp_lt_i64_e64 s2, s[10:11], 1
	s_and_b32 vcc_lo, exec_lo, s2
	s_cbranch_vccnz .LBB21_57
; %bb.23:
	s_load_b32 s0, s[0:1], 0xc64
	v_min_i64 v[2:3], 0x10000, s[10:11]
	v_min_u64 v[4:5], 0x10000, s[10:11]
	v_dual_mov_b32 v1, 0 :: v_dual_lshlrev_b32 v12, 3, v0
	v_mov_b64_e32 v[6:7], s[6:7]
	s_mov_b32 s3, 0
	s_sub_f32 s10, 1.0, s6
	s_delay_alu instid0(VALU_DEP_2) | instskip(SKIP_2) | instid1(VALU_DEP_2)
	v_dual_mov_b32 v13, v1 :: v_dual_mov_b32 v27, v1
	s_mov_b32 s25, s3
	s_mov_b32 s21, s3
	v_pk_mul_f32 v[6:7], v[6:7], v[6:7]
	s_mov_b32 s23, s3
	v_add_nc_u64_e32 v[8:9], s[4:5], v[12:13]
	s_sub_f32 s12, 0, s7
	s_mov_b32 s14, s6
	s_mov_b32 s15, s6
	s_mov_b32 s6, s7
	s_mov_b32 s17, s3
	s_wait_kmcnt 0x0
	s_and_b32 s2, s0, 0xffff
	s_mov_b32 s11, s10
	v_add_nc_u64_e32 v[10:11], s[2:3], v[0:1]
	v_mad_nc_u64_u32 v[14:15], s2, 24, v[12:13]
	s_lshl_b32 s24, s2, 4
	v_add_f32_e32 v16, v6, v7
	v_add_nc_u64_e32 v[20:21], s[24:25], v[12:13]
	s_lshl_b32 s20, s2, 1
	s_mul_i32 s22, s2, 3
	v_lshlrev_b32_e32 v26, 3, v10
	v_add_nc_u64_e32 v[6:7], s[18:19], v[12:13]
	v_cmp_ngt_f32_e64 s0, 0x3e800000, v16
	v_add_nc_u64_e32 v[16:17], s[22:23], v[0:1]
	v_add_nc_u64_e32 v[18:19], s[18:19], v[20:21]
	;; [unrolled: 1-line block ×8, first 2 shown]
	s_lshl_b32 s16, s2, 2
	s_mov_b32 s13, s12
	s_lshl_b32 s18, s2, 5
	s_mov_b32 s19, s3
	s_mov_b64 s[20:21], 0
	s_branch .LBB21_25
.LBB21_24:                              ;   in Loop: Header=BB21_25 Depth=1
	s_wait_xcnt 0x0
	s_or_b32 exec_lo, exec_lo, s1
	s_add_nc_u64 s[20:21], s[20:21], s[16:17]
	v_add_nc_u64_e32 v[6:7], s[18:19], v[6:7]
	v_cmp_ge_i64_e32 vcc_lo, s[20:21], v[2:3]
	v_add_nc_u64_e32 v[8:9], s[18:19], v[8:9]
	v_add_nc_u64_e32 v[12:13], s[18:19], v[12:13]
	;; [unrolled: 1-line block ×7, first 2 shown]
	s_cbranch_vccnz .LBB21_57
.LBB21_25:                              ; =>This Inner Loop Header: Depth=1
	v_add_nc_u64_e32 v[28:29], s[20:21], v[0:1]
	v_dual_mov_b32 v40, 0 :: v_dual_mov_b32 v41, 0
	v_dual_mov_b32 v44, 0 :: v_dual_mov_b32 v45, 0
	s_delay_alu instid0(VALU_DEP_3)
	v_cmp_lt_u64_e64 s1, v[28:29], v[4:5]
	s_and_saveexec_b32 s2, s1
	s_cbranch_execz .LBB21_27
; %bb.26:                               ;   in Loop: Header=BB21_25 Depth=1
	v_add_nc_u64_e32 v[28:29], s[8:9], v[8:9]
	v_add_nc_u64_e32 v[30:31], s[8:9], v[6:7]
	global_load_b64 v[40:41], v[28:29], off
	global_load_b64 v[44:45], v[30:31], off
.LBB21_27:                              ;   in Loop: Header=BB21_25 Depth=1
	s_wait_xcnt 0x0
	s_or_b32 exec_lo, exec_lo, s2
	v_add_nc_u64_e32 v[30:31], s[20:21], v[10:11]
	v_dual_mov_b32 v28, 0 :: v_dual_mov_b32 v34, 0
	v_dual_mov_b32 v35, 0 :: v_dual_mov_b32 v42, 0
	v_mov_b32_e32 v43, 0
	s_delay_alu instid0(VALU_DEP_4)
	v_cmp_lt_u64_e64 s2, v[30:31], v[4:5]
	s_and_saveexec_b32 s3, s2
	s_cbranch_execz .LBB21_29
; %bb.28:                               ;   in Loop: Header=BB21_25 Depth=1
	v_add_nc_u64_e32 v[30:31], s[8:9], v[26:27]
	v_add_nc_u64_e32 v[32:33], s[8:9], v[24:25]
	global_load_b64 v[34:35], v[30:31], off
	global_load_b64 v[42:43], v[32:33], off
.LBB21_29:                              ;   in Loop: Header=BB21_25 Depth=1
	s_wait_xcnt 0x0
	s_or_b32 exec_lo, exec_lo, s3
	v_add_nc_u64_e32 v[30:31], s[20:21], v[22:23]
	v_dual_mov_b32 v29, 0 :: v_dual_mov_b32 v36, 0
	v_mov_b32_e32 v37, 0
	s_delay_alu instid0(VALU_DEP_3)
	v_cmp_lt_u64_e64 s3, v[30:31], v[4:5]
	s_and_saveexec_b32 s4, s3
	s_cbranch_execz .LBB21_31
; %bb.30:                               ;   in Loop: Header=BB21_25 Depth=1
	v_add_nc_u64_e32 v[30:31], s[8:9], v[20:21]
	v_add_nc_u64_e32 v[32:33], s[8:9], v[18:19]
	global_load_b64 v[28:29], v[30:31], off
	global_load_b64 v[36:37], v[32:33], off
.LBB21_31:                              ;   in Loop: Header=BB21_25 Depth=1
	s_wait_xcnt 0x0
	s_or_b32 exec_lo, exec_lo, s4
	v_add_nc_u64_e32 v[32:33], s[20:21], v[16:17]
	v_mov_b32_e32 v30, 0
	s_delay_alu instid0(VALU_DEP_1) | instskip(NEXT) | instid1(VALU_DEP_3)
	v_mov_b32_e32 v31, v30
	v_cmp_lt_u64_e64 s4, v[32:33], v[4:5]
	v_dual_mov_b32 v32, v30 :: v_dual_mov_b32 v33, v30
	s_and_saveexec_b32 s5, s4
	s_cbranch_execz .LBB21_33
; %bb.32:                               ;   in Loop: Header=BB21_25 Depth=1
	v_add_nc_u64_e32 v[38:39], s[8:9], v[14:15]
	v_add_nc_u64_e32 v[46:47], s[8:9], v[12:13]
	global_load_b64 v[30:31], v[38:39], off
	global_load_b64 v[32:33], v[46:47], off
.LBB21_33:                              ;   in Loop: Header=BB21_25 Depth=1
	s_wait_xcnt 0x0
	s_or_b32 exec_lo, exec_lo, s5
	s_wait_loadcnt 0x0
	v_pk_add_f32 v[46:47], v[44:45], v[40:41] neg_lo:[0,1] neg_hi:[0,1]
	s_and_b32 vcc_lo, exec_lo, s0
	s_mov_b32 s5, -1
                                        ; implicit-def: $vgpr38_vgpr39
	s_cbranch_vccz .LBB21_35
; %bb.34:                               ;   in Loop: Header=BB21_25 Depth=1
	v_mov_b64_e32 v[38:39], s[12:13]
	v_mov_b64_e32 v[48:49], s[10:11]
	s_delay_alu instid0(VALU_DEP_2) | instskip(NEXT) | instid1(VALU_DEP_1)
	v_pk_mul_f32 v[38:39], v[38:39], v[46:47] op_sel:[0,1] op_sel_hi:[1,0]
	v_pk_fma_f32 v[50:51], v[48:49], v[46:47], v[38:39]
	v_pk_fma_f32 v[38:39], v[48:49], v[46:47], v[38:39] neg_lo:[0,0,1] neg_hi:[0,0,1]
	s_delay_alu instid0(VALU_DEP_2) | instskip(NEXT) | instid1(VALU_DEP_1)
	v_mov_b32_e32 v39, v51
	v_pk_add_f32 v[38:39], v[44:45], v[38:39] neg_lo:[0,1] neg_hi:[0,1]
	s_cbranch_execnz .LBB21_37
	s_branch .LBB21_36
.LBB21_35:                              ;   in Loop: Header=BB21_25 Depth=1
	s_and_not1_b32 vcc_lo, exec_lo, s5
	s_cbranch_vccnz .LBB21_37
.LBB21_36:                              ;   in Loop: Header=BB21_25 Depth=1
	v_mov_b64_e32 v[38:39], s[6:7]
	v_mov_b64_e32 v[44:45], s[14:15]
	s_delay_alu instid0(VALU_DEP_2) | instskip(NEXT) | instid1(VALU_DEP_1)
	v_pk_mul_f32 v[38:39], v[46:47], v[38:39] op_sel:[1,0] op_sel_hi:[0,1]
	v_pk_fma_f32 v[48:49], v[46:47], v[44:45], v[38:39]
	v_pk_fma_f32 v[38:39], v[46:47], v[44:45], v[38:39] neg_lo:[0,0,1] neg_hi:[0,0,1]
	s_delay_alu instid0(VALU_DEP_2) | instskip(NEXT) | instid1(VALU_DEP_1)
	v_mov_b32_e32 v39, v49
	v_pk_add_f32 v[38:39], v[40:41], v[38:39]
.LBB21_37:                              ;   in Loop: Header=BB21_25 Depth=1
	v_pk_add_f32 v[44:45], v[42:43], v[34:35] neg_lo:[0,1] neg_hi:[0,1]
	s_and_not1_b32 vcc_lo, exec_lo, s0
	s_mov_b32 s5, -1
                                        ; implicit-def: $vgpr40_vgpr41
	s_cbranch_vccnz .LBB21_39
; %bb.38:                               ;   in Loop: Header=BB21_25 Depth=1
	v_mov_b64_e32 v[40:41], s[12:13]
	v_mov_b64_e32 v[46:47], s[10:11]
	s_delay_alu instid0(VALU_DEP_2) | instskip(NEXT) | instid1(VALU_DEP_1)
	v_pk_mul_f32 v[40:41], v[40:41], v[44:45] op_sel:[0,1] op_sel_hi:[1,0]
	v_pk_fma_f32 v[48:49], v[46:47], v[44:45], v[40:41]
	v_pk_fma_f32 v[40:41], v[46:47], v[44:45], v[40:41] neg_lo:[0,0,1] neg_hi:[0,0,1]
	s_delay_alu instid0(VALU_DEP_2) | instskip(NEXT) | instid1(VALU_DEP_1)
	v_mov_b32_e32 v41, v49
	v_pk_add_f32 v[40:41], v[42:43], v[40:41] neg_lo:[0,1] neg_hi:[0,1]
	s_cbranch_execnz .LBB21_41
	s_branch .LBB21_40
.LBB21_39:                              ;   in Loop: Header=BB21_25 Depth=1
	s_and_not1_b32 vcc_lo, exec_lo, s5
	s_cbranch_vccnz .LBB21_41
.LBB21_40:                              ;   in Loop: Header=BB21_25 Depth=1
	v_mov_b64_e32 v[40:41], s[6:7]
	v_mov_b64_e32 v[42:43], s[14:15]
	s_delay_alu instid0(VALU_DEP_2) | instskip(NEXT) | instid1(VALU_DEP_1)
	v_pk_mul_f32 v[40:41], v[44:45], v[40:41] op_sel:[1,0] op_sel_hi:[0,1]
	v_pk_fma_f32 v[46:47], v[44:45], v[42:43], v[40:41]
	v_pk_fma_f32 v[40:41], v[44:45], v[42:43], v[40:41] neg_lo:[0,0,1] neg_hi:[0,0,1]
	s_delay_alu instid0(VALU_DEP_2) | instskip(NEXT) | instid1(VALU_DEP_1)
	v_mov_b32_e32 v41, v47
	v_pk_add_f32 v[40:41], v[34:35], v[40:41]
.LBB21_41:                              ;   in Loop: Header=BB21_25 Depth=1
	v_pk_add_f32 v[42:43], v[36:37], v[28:29] neg_lo:[0,1] neg_hi:[0,1]
	s_and_not1_b32 vcc_lo, exec_lo, s0
	s_mov_b32 s5, -1
                                        ; implicit-def: $vgpr34_vgpr35
	s_cbranch_vccnz .LBB21_43
; %bb.42:                               ;   in Loop: Header=BB21_25 Depth=1
	v_mov_b64_e32 v[34:35], s[12:13]
	v_mov_b64_e32 v[44:45], s[10:11]
	s_delay_alu instid0(VALU_DEP_2) | instskip(NEXT) | instid1(VALU_DEP_1)
	v_pk_mul_f32 v[34:35], v[34:35], v[42:43] op_sel:[0,1] op_sel_hi:[1,0]
	v_pk_fma_f32 v[46:47], v[44:45], v[42:43], v[34:35]
	v_pk_fma_f32 v[34:35], v[44:45], v[42:43], v[34:35] neg_lo:[0,0,1] neg_hi:[0,0,1]
	s_delay_alu instid0(VALU_DEP_2) | instskip(NEXT) | instid1(VALU_DEP_1)
	v_mov_b32_e32 v35, v47
	v_pk_add_f32 v[34:35], v[36:37], v[34:35] neg_lo:[0,1] neg_hi:[0,1]
	s_cbranch_execnz .LBB21_45
	s_branch .LBB21_44
.LBB21_43:                              ;   in Loop: Header=BB21_25 Depth=1
	s_and_not1_b32 vcc_lo, exec_lo, s5
	s_cbranch_vccnz .LBB21_45
.LBB21_44:                              ;   in Loop: Header=BB21_25 Depth=1
	v_mov_b64_e32 v[34:35], s[6:7]
	v_mov_b64_e32 v[36:37], s[14:15]
	s_delay_alu instid0(VALU_DEP_2) | instskip(NEXT) | instid1(VALU_DEP_1)
	v_pk_mul_f32 v[34:35], v[42:43], v[34:35] op_sel:[1,0] op_sel_hi:[0,1]
	v_pk_fma_f32 v[44:45], v[42:43], v[36:37], v[34:35]
	v_pk_fma_f32 v[34:35], v[42:43], v[36:37], v[34:35] neg_lo:[0,0,1] neg_hi:[0,0,1]
	s_delay_alu instid0(VALU_DEP_2) | instskip(NEXT) | instid1(VALU_DEP_1)
	v_mov_b32_e32 v35, v45
	v_pk_add_f32 v[34:35], v[28:29], v[34:35]
.LBB21_45:                              ;   in Loop: Header=BB21_25 Depth=1
	v_pk_add_f32 v[36:37], v[32:33], v[30:31] neg_lo:[0,1] neg_hi:[0,1]
	s_and_not1_b32 vcc_lo, exec_lo, s0
	s_mov_b32 s5, -1
                                        ; implicit-def: $vgpr28_vgpr29
	s_cbranch_vccnz .LBB21_51
; %bb.46:                               ;   in Loop: Header=BB21_25 Depth=1
	v_mov_b64_e32 v[28:29], s[12:13]
	v_mov_b64_e32 v[42:43], s[10:11]
	s_delay_alu instid0(VALU_DEP_2) | instskip(NEXT) | instid1(VALU_DEP_1)
	v_pk_mul_f32 v[28:29], v[28:29], v[36:37] op_sel:[0,1] op_sel_hi:[1,0]
	v_pk_fma_f32 v[44:45], v[42:43], v[36:37], v[28:29]
	v_pk_fma_f32 v[28:29], v[42:43], v[36:37], v[28:29] neg_lo:[0,0,1] neg_hi:[0,0,1]
	s_delay_alu instid0(VALU_DEP_2) | instskip(NEXT) | instid1(VALU_DEP_1)
	v_mov_b32_e32 v29, v45
	v_pk_add_f32 v[28:29], v[32:33], v[28:29] neg_lo:[0,1] neg_hi:[0,1]
	s_cbranch_execz .LBB21_52
.LBB21_47:                              ;   in Loop: Header=BB21_25 Depth=1
	s_and_saveexec_b32 s5, s1
	s_delay_alu instid0(SALU_CYCLE_1)
	s_xor_b32 s1, exec_lo, s5
	s_cbranch_execz .LBB21_53
.LBB21_48:                              ;   in Loop: Header=BB21_25 Depth=1
	v_add_nc_u64_e32 v[30:31], s[8:9], v[8:9]
	global_store_b64 v[30:31], v[38:39], off
	s_wait_xcnt 0x0
	s_or_b32 exec_lo, exec_lo, s1
	s_and_saveexec_b32 s1, s2
	s_cbranch_execnz .LBB21_54
.LBB21_49:                              ;   in Loop: Header=BB21_25 Depth=1
	s_or_b32 exec_lo, exec_lo, s1
	s_and_saveexec_b32 s1, s3
	s_cbranch_execz .LBB21_55
.LBB21_50:                              ;   in Loop: Header=BB21_25 Depth=1
	v_add_nc_u64_e32 v[30:31], s[8:9], v[20:21]
	global_store_b64 v[30:31], v[34:35], off
	s_wait_xcnt 0x0
	s_or_b32 exec_lo, exec_lo, s1
	s_and_saveexec_b32 s1, s4
	s_cbranch_execz .LBB21_24
	s_branch .LBB21_56
.LBB21_51:                              ;   in Loop: Header=BB21_25 Depth=1
	s_and_not1_b32 vcc_lo, exec_lo, s5
	s_cbranch_vccnz .LBB21_47
.LBB21_52:                              ;   in Loop: Header=BB21_25 Depth=1
	v_mov_b64_e32 v[28:29], s[6:7]
	v_mov_b64_e32 v[32:33], s[14:15]
	s_delay_alu instid0(VALU_DEP_2) | instskip(NEXT) | instid1(VALU_DEP_1)
	v_pk_mul_f32 v[28:29], v[36:37], v[28:29] op_sel:[1,0] op_sel_hi:[0,1]
	v_pk_fma_f32 v[42:43], v[36:37], v[32:33], v[28:29]
	v_pk_fma_f32 v[28:29], v[36:37], v[32:33], v[28:29] neg_lo:[0,0,1] neg_hi:[0,0,1]
	s_delay_alu instid0(VALU_DEP_2) | instskip(NEXT) | instid1(VALU_DEP_1)
	v_mov_b32_e32 v29, v43
	v_pk_add_f32 v[28:29], v[30:31], v[28:29]
	s_and_saveexec_b32 s5, s1
	s_delay_alu instid0(SALU_CYCLE_1)
	s_xor_b32 s1, exec_lo, s5
	s_cbranch_execnz .LBB21_48
.LBB21_53:                              ;   in Loop: Header=BB21_25 Depth=1
	s_or_b32 exec_lo, exec_lo, s1
	s_and_saveexec_b32 s1, s2
	s_cbranch_execz .LBB21_49
.LBB21_54:                              ;   in Loop: Header=BB21_25 Depth=1
	v_add_nc_u64_e32 v[30:31], s[8:9], v[26:27]
	global_store_b64 v[30:31], v[40:41], off
	s_wait_xcnt 0x0
	s_or_b32 exec_lo, exec_lo, s1
	s_and_saveexec_b32 s1, s3
	s_cbranch_execnz .LBB21_50
.LBB21_55:                              ;   in Loop: Header=BB21_25 Depth=1
	s_or_b32 exec_lo, exec_lo, s1
	s_and_saveexec_b32 s1, s4
	s_cbranch_execz .LBB21_24
.LBB21_56:                              ;   in Loop: Header=BB21_25 Depth=1
	v_add_nc_u64_e32 v[30:31], s[8:9], v[14:15]
	global_store_b64 v[30:31], v[28:29], off
	s_branch .LBB21_24
.LBB21_57:
	s_endpgm
	.section	.rodata,"a",@progbits
	.p2align	6, 0x0
	.amdhsa_kernel _ZN2at6native12_GLOBAL__N_125multi_tensor_apply_kernelINS1_18TensorListMetadataILi2EEENS1_22TernaryOpScalarFunctorIN3c107complexIfEELi2ELi2ELi0EEEJNS0_11LerpFunctorIS8_EES8_EEEvT_T0_DpT1_
		.amdhsa_group_segment_fixed_size 0
		.amdhsa_private_segment_fixed_size 0
		.amdhsa_kernarg_size 3416
		.amdhsa_user_sgpr_count 2
		.amdhsa_user_sgpr_dispatch_ptr 0
		.amdhsa_user_sgpr_queue_ptr 0
		.amdhsa_user_sgpr_kernarg_segment_ptr 1
		.amdhsa_user_sgpr_dispatch_id 0
		.amdhsa_user_sgpr_kernarg_preload_length 0
		.amdhsa_user_sgpr_kernarg_preload_offset 0
		.amdhsa_user_sgpr_private_segment_size 0
		.amdhsa_wavefront_size32 1
		.amdhsa_uses_dynamic_stack 0
		.amdhsa_enable_private_segment 0
		.amdhsa_system_sgpr_workgroup_id_x 1
		.amdhsa_system_sgpr_workgroup_id_y 0
		.amdhsa_system_sgpr_workgroup_id_z 0
		.amdhsa_system_sgpr_workgroup_info 0
		.amdhsa_system_vgpr_workitem_id 0
		.amdhsa_next_free_vgpr 52
		.amdhsa_next_free_sgpr 26
		.amdhsa_named_barrier_count 0
		.amdhsa_reserve_vcc 1
		.amdhsa_float_round_mode_32 0
		.amdhsa_float_round_mode_16_64 0
		.amdhsa_float_denorm_mode_32 3
		.amdhsa_float_denorm_mode_16_64 3
		.amdhsa_fp16_overflow 0
		.amdhsa_memory_ordered 1
		.amdhsa_forward_progress 1
		.amdhsa_inst_pref_size 20
		.amdhsa_round_robin_scheduling 0
		.amdhsa_exception_fp_ieee_invalid_op 0
		.amdhsa_exception_fp_denorm_src 0
		.amdhsa_exception_fp_ieee_div_zero 0
		.amdhsa_exception_fp_ieee_overflow 0
		.amdhsa_exception_fp_ieee_underflow 0
		.amdhsa_exception_fp_ieee_inexact 0
		.amdhsa_exception_int_div_zero 0
	.end_amdhsa_kernel
	.section	.text._ZN2at6native12_GLOBAL__N_125multi_tensor_apply_kernelINS1_18TensorListMetadataILi2EEENS1_22TernaryOpScalarFunctorIN3c107complexIfEELi2ELi2ELi0EEEJNS0_11LerpFunctorIS8_EES8_EEEvT_T0_DpT1_,"axG",@progbits,_ZN2at6native12_GLOBAL__N_125multi_tensor_apply_kernelINS1_18TensorListMetadataILi2EEENS1_22TernaryOpScalarFunctorIN3c107complexIfEELi2ELi2ELi0EEEJNS0_11LerpFunctorIS8_EES8_EEEvT_T0_DpT1_,comdat
.Lfunc_end21:
	.size	_ZN2at6native12_GLOBAL__N_125multi_tensor_apply_kernelINS1_18TensorListMetadataILi2EEENS1_22TernaryOpScalarFunctorIN3c107complexIfEELi2ELi2ELi0EEEJNS0_11LerpFunctorIS8_EES8_EEEvT_T0_DpT1_, .Lfunc_end21-_ZN2at6native12_GLOBAL__N_125multi_tensor_apply_kernelINS1_18TensorListMetadataILi2EEENS1_22TernaryOpScalarFunctorIN3c107complexIfEELi2ELi2ELi0EEEJNS0_11LerpFunctorIS8_EES8_EEEvT_T0_DpT1_
                                        ; -- End function
	.set _ZN2at6native12_GLOBAL__N_125multi_tensor_apply_kernelINS1_18TensorListMetadataILi2EEENS1_22TernaryOpScalarFunctorIN3c107complexIfEELi2ELi2ELi0EEEJNS0_11LerpFunctorIS8_EES8_EEEvT_T0_DpT1_.num_vgpr, 52
	.set _ZN2at6native12_GLOBAL__N_125multi_tensor_apply_kernelINS1_18TensorListMetadataILi2EEENS1_22TernaryOpScalarFunctorIN3c107complexIfEELi2ELi2ELi0EEEJNS0_11LerpFunctorIS8_EES8_EEEvT_T0_DpT1_.num_agpr, 0
	.set _ZN2at6native12_GLOBAL__N_125multi_tensor_apply_kernelINS1_18TensorListMetadataILi2EEENS1_22TernaryOpScalarFunctorIN3c107complexIfEELi2ELi2ELi0EEEJNS0_11LerpFunctorIS8_EES8_EEEvT_T0_DpT1_.numbered_sgpr, 26
	.set _ZN2at6native12_GLOBAL__N_125multi_tensor_apply_kernelINS1_18TensorListMetadataILi2EEENS1_22TernaryOpScalarFunctorIN3c107complexIfEELi2ELi2ELi0EEEJNS0_11LerpFunctorIS8_EES8_EEEvT_T0_DpT1_.num_named_barrier, 0
	.set _ZN2at6native12_GLOBAL__N_125multi_tensor_apply_kernelINS1_18TensorListMetadataILi2EEENS1_22TernaryOpScalarFunctorIN3c107complexIfEELi2ELi2ELi0EEEJNS0_11LerpFunctorIS8_EES8_EEEvT_T0_DpT1_.private_seg_size, 0
	.set _ZN2at6native12_GLOBAL__N_125multi_tensor_apply_kernelINS1_18TensorListMetadataILi2EEENS1_22TernaryOpScalarFunctorIN3c107complexIfEELi2ELi2ELi0EEEJNS0_11LerpFunctorIS8_EES8_EEEvT_T0_DpT1_.uses_vcc, 1
	.set _ZN2at6native12_GLOBAL__N_125multi_tensor_apply_kernelINS1_18TensorListMetadataILi2EEENS1_22TernaryOpScalarFunctorIN3c107complexIfEELi2ELi2ELi0EEEJNS0_11LerpFunctorIS8_EES8_EEEvT_T0_DpT1_.uses_flat_scratch, 0
	.set _ZN2at6native12_GLOBAL__N_125multi_tensor_apply_kernelINS1_18TensorListMetadataILi2EEENS1_22TernaryOpScalarFunctorIN3c107complexIfEELi2ELi2ELi0EEEJNS0_11LerpFunctorIS8_EES8_EEEvT_T0_DpT1_.has_dyn_sized_stack, 0
	.set _ZN2at6native12_GLOBAL__N_125multi_tensor_apply_kernelINS1_18TensorListMetadataILi2EEENS1_22TernaryOpScalarFunctorIN3c107complexIfEELi2ELi2ELi0EEEJNS0_11LerpFunctorIS8_EES8_EEEvT_T0_DpT1_.has_recursion, 0
	.set _ZN2at6native12_GLOBAL__N_125multi_tensor_apply_kernelINS1_18TensorListMetadataILi2EEENS1_22TernaryOpScalarFunctorIN3c107complexIfEELi2ELi2ELi0EEEJNS0_11LerpFunctorIS8_EES8_EEEvT_T0_DpT1_.has_indirect_call, 0
	.section	.AMDGPU.csdata,"",@progbits
; Kernel info:
; codeLenInByte = 2448
; TotalNumSgprs: 28
; NumVgprs: 52
; ScratchSize: 0
; MemoryBound: 1
; FloatMode: 240
; IeeeMode: 1
; LDSByteSize: 0 bytes/workgroup (compile time only)
; SGPRBlocks: 0
; VGPRBlocks: 3
; NumSGPRsForWavesPerEU: 28
; NumVGPRsForWavesPerEU: 52
; NamedBarCnt: 0
; Occupancy: 16
; WaveLimiterHint : 0
; COMPUTE_PGM_RSRC2:SCRATCH_EN: 0
; COMPUTE_PGM_RSRC2:USER_SGPR: 2
; COMPUTE_PGM_RSRC2:TRAP_HANDLER: 0
; COMPUTE_PGM_RSRC2:TGID_X_EN: 1
; COMPUTE_PGM_RSRC2:TGID_Y_EN: 0
; COMPUTE_PGM_RSRC2:TGID_Z_EN: 0
; COMPUTE_PGM_RSRC2:TIDIG_COMP_CNT: 0
	.section	.text._ZN2at6native12_GLOBAL__N_125multi_tensor_apply_kernelINS1_18TensorListMetadataILi2EEENS1_22TernaryOpScalarFunctorIN3c104HalfELi2ELi2ELi0EEEJNS0_11LerpFunctorIfEEfEEEvT_T0_DpT1_,"axG",@progbits,_ZN2at6native12_GLOBAL__N_125multi_tensor_apply_kernelINS1_18TensorListMetadataILi2EEENS1_22TernaryOpScalarFunctorIN3c104HalfELi2ELi2ELi0EEEJNS0_11LerpFunctorIfEEfEEEvT_T0_DpT1_,comdat
	.globl	_ZN2at6native12_GLOBAL__N_125multi_tensor_apply_kernelINS1_18TensorListMetadataILi2EEENS1_22TernaryOpScalarFunctorIN3c104HalfELi2ELi2ELi0EEEJNS0_11LerpFunctorIfEEfEEEvT_T0_DpT1_ ; -- Begin function _ZN2at6native12_GLOBAL__N_125multi_tensor_apply_kernelINS1_18TensorListMetadataILi2EEENS1_22TernaryOpScalarFunctorIN3c104HalfELi2ELi2ELi0EEEJNS0_11LerpFunctorIfEEfEEEvT_T0_DpT1_
	.p2align	8
	.type	_ZN2at6native12_GLOBAL__N_125multi_tensor_apply_kernelINS1_18TensorListMetadataILi2EEENS1_22TernaryOpScalarFunctorIN3c104HalfELi2ELi2ELi0EEEJNS0_11LerpFunctorIfEEfEEEvT_T0_DpT1_,@function
_ZN2at6native12_GLOBAL__N_125multi_tensor_apply_kernelINS1_18TensorListMetadataILi2EEENS1_22TernaryOpScalarFunctorIN3c104HalfELi2ELi2ELi0EEEJNS0_11LerpFunctorIfEEfEEEvT_T0_DpT1_: ; @_ZN2at6native12_GLOBAL__N_125multi_tensor_apply_kernelINS1_18TensorListMetadataILi2EEENS1_22TernaryOpScalarFunctorIN3c104HalfELi2ELi2ELi0EEEJNS0_11LerpFunctorIfEEfEEEvT_T0_DpT1_
; %bb.0:
	s_bfe_u32 s2, ttmp6, 0x4000c
	s_and_b32 s3, ttmp6, 15
	s_add_co_i32 s2, s2, 1
	s_getreg_b32 s4, hwreg(HW_REG_IB_STS2, 6, 4)
	s_mul_i32 s2, ttmp9, s2
	s_delay_alu instid0(SALU_CYCLE_1)
	s_add_co_i32 s3, s3, s2
	s_cmp_eq_u32 s4, 0
	s_cselect_b32 s2, ttmp9, s3
	s_mov_b32 s3, 0
	s_load_u8 s13, s[0:1], s2 offset:0x600
	s_add_nc_u64 s[4:5], s[0:1], s[2:3]
	s_mul_u64 s[6:7], s[2:3], 3
	s_mov_b32 s17, s3
	s_add_nc_u64 s[6:7], s[4:5], s[6:7]
	s_load_b32 s12, s[6:7], 0x740
	s_wait_kmcnt 0x0
	s_clause 0x3
	s_load_b64 s[8:9], s[0:1], s13 offset:0x0 scale_offset
	s_load_b64 s[10:11], s[0:1], s13 offset:0x200 scale_offset
	s_load_b64 s[14:15], s[0:1], s13 offset:0x400 scale_offset
	s_load_b32 s4, s[0:1], 0xc4c
	s_wait_xcnt 0x0
	s_ashr_i32 s13, s12, 31
	s_delay_alu instid0(SALU_CYCLE_1)
	s_lshl_b64 s[6:7], s[12:13], 17
	s_wait_kmcnt 0x0
	s_and_b64 s[20:21], s[10:11], 7
	s_add_nc_u64 s[18:19], s[8:9], s[6:7]
	s_and_b32 s16, s14, 3
	s_and_b32 s2, s18, 7
	s_or_b64 s[16:17], s[20:21], s[16:17]
	s_lshl_b64 s[12:13], s[12:13], 16
	s_or_b64 s[2:3], s[16:17], s[2:3]
	s_sub_nc_u64 s[12:13], s[14:15], s[12:13]
	s_cmp_eq_u64 s[2:3], 0
	s_mov_b32 s2, -1
	s_cbranch_scc0 .LBB22_5
; %bb.1:
	v_min_i64 v[2:3], 0x10000, s[12:13]
	v_dual_mov_b32 v9, 0 :: v_dual_lshlrev_b32 v8, 2, v0
	s_mov_b32 s3, exec_lo
	s_delay_alu instid0(VALU_DEP_1)
	v_cmpx_lt_i64_e64 v[8:9], v[2:3]
	s_cbranch_execz .LBB22_4
; %bb.2:
	s_load_b32 s2, s[0:1], 0xc5c
	s_and_b32 s14, s4, 0x7fffffff
	s_sub_f32 s16, 1.0, s4
	v_dual_mov_b32 v1, v9 :: v_dual_lshlrev_b32 v8, 3, v0
	s_cmp_lt_f32 s14, 0.5
	s_mov_b32 s5, s4
	s_mov_b32 s17, s16
	v_mov_b64_e32 v[6:7], s[4:5]
	v_add_nc_u64_e32 v[8:9], s[6:7], v[8:9]
	s_cselect_b32 vcc_lo, -1, 0
	s_xor_b32 s18, s16, 0x80000000
	s_xor_b32 s5, s16, 0x80000000
	v_mov_b64_e32 v[12:13], s[16:17]
	v_mov_b64_e32 v[14:15], v[0:1]
	v_dual_mov_b32 v4, s4 :: v_dual_mov_b32 v5, s4
	v_dual_mov_b32 v10, s5 :: v_dual_mov_b32 v11, s18
	s_mov_b32 s15, 0
	s_wait_kmcnt 0x0
	s_and_b32 s14, s2, 0xffff
	s_mov_b32 s17, s15
	s_lshl_b32 s16, s14, 3
	s_mov_b32 s5, s15
.LBB22_3:                               ; =>This Inner Loop Header: Depth=1
	v_add_nc_u64_e32 v[16:17], s[8:9], v[8:9]
	v_add_nc_u64_e32 v[18:19], s[10:11], v[8:9]
	;; [unrolled: 1-line block ×4, first 2 shown]
	global_load_b64 v[20:21], v[16:17], off
	global_load_b64 v[22:23], v[18:19], off
	s_wait_xcnt 0x0
	v_lshlrev_b64_e32 v[18:19], 2, v[14:15]
	s_delay_alu instid0(VALU_DEP_1)
	v_cmp_ge_i64_e64 s2, v[18:19], v[2:3]
	s_or_b32 s5, s2, s5
	s_wait_loadcnt 0x1
	v_lshrrev_b32_e32 v1, 16, v21
	v_cvt_f32_f16_e32 v24, v21
	s_wait_loadcnt 0x0
	v_dual_lshrrev_b32 v21, 16, v20 :: v_dual_lshrrev_b32 v27, 16, v23
	v_cvt_f32_f16_e32 v26, v23
	v_lshrrev_b32_e32 v23, 16, v22
	v_cvt_f32_f16_e32 v20, v20
	v_cvt_f32_f16_e32 v22, v22
	;; [unrolled: 1-line block ×6, first 2 shown]
	v_sub_f32_e32 v28, v22, v20
	s_delay_alu instid0(VALU_DEP_3) | instskip(NEXT) | instid1(VALU_DEP_3)
	v_dual_sub_f32 v30, v26, v24 :: v_dual_sub_f32 v31, v27, v25
	v_sub_f32_e32 v29, v23, v21
	s_delay_alu instid0(VALU_DEP_2) | instskip(NEXT) | instid1(VALU_DEP_2)
	v_pk_fma_f32 v[24:25], v[4:5], v[30:31], v[24:25]
	v_pk_fma_f32 v[20:21], v[6:7], v[28:29], v[20:21]
	v_pk_fma_f32 v[22:23], v[12:13], v[28:29], v[22:23] neg_lo:[1,0,0] neg_hi:[1,0,0]
	v_pk_fma_f32 v[26:27], v[10:11], v[30:31], v[26:27]
	s_delay_alu instid0(VALU_DEP_1) | instskip(NEXT) | instid1(VALU_DEP_2)
	v_dual_cndmask_b32 v1, v23, v21, vcc_lo :: v_dual_cndmask_b32 v23, v26, v24, vcc_lo
	v_dual_cndmask_b32 v21, v27, v25 :: v_dual_cndmask_b32 v20, v22, v20
	s_delay_alu instid0(VALU_DEP_1) | instskip(NEXT) | instid1(VALU_DEP_2)
	v_cvt_pk_f16_f32 v19, v23, v21
	v_cvt_pk_f16_f32 v18, v20, v1
	global_store_b64 v[16:17], v[18:19], off
	s_wait_xcnt 0x0
	s_and_not1_b32 exec_lo, exec_lo, s5
	s_cbranch_execnz .LBB22_3
.LBB22_4:
	s_or_b32 exec_lo, exec_lo, s3
	s_mov_b32 s2, 0
.LBB22_5:
	s_delay_alu instid0(SALU_CYCLE_1)
	s_and_not1_b32 vcc_lo, exec_lo, s2
	s_cbranch_vccnz .LBB22_25
; %bb.6:
	v_cmp_lt_i64_e64 s2, s[12:13], 1
	s_and_b32 vcc_lo, exec_lo, s2
	s_cbranch_vccnz .LBB22_25
; %bb.7:
	s_load_b32 s0, s[0:1], 0xc5c
	v_min_i64 v[2:3], 0x10000, s[12:13]
	v_min_u64 v[4:5], 0x10000, s[12:13]
	v_dual_mov_b32 v1, 0 :: v_dual_lshlrev_b32 v12, 1, v0
	s_wait_xcnt 0x0
	s_and_b32 s1, s4, 0x7fffffff
	s_mov_b32 s3, 0
	s_sub_f32 s5, 1.0, s4
	v_dual_mov_b32 v13, v1 :: v_dual_mov_b32 v27, v1
	s_mov_b32 s13, s3
	s_mov_b32 s15, s3
	;; [unrolled: 1-line block ×3, first 2 shown]
	s_delay_alu instid0(VALU_DEP_1) | instskip(SKIP_3) | instid1(SALU_CYCLE_1)
	v_add_nc_u64_e32 v[8:9], s[8:9], v[12:13]
	v_add_nc_u64_e32 v[10:11], s[10:11], v[12:13]
	s_wait_kmcnt 0x0
	s_and_b32 s2, s0, 0xffff
	s_lshl_b32 s14, s2, 1
	s_cmp_lt_f32 s1, 0.5
	v_add_nc_u64_e32 v[6:7], s[2:3], v[0:1]
	v_mad_nc_u64_u32 v[18:19], s2, 6, v[12:13]
	s_mul_i32 s16, s2, 3
	s_cselect_b32 s0, -1, 0
	s_lshl_b32 s12, s2, 2
	v_add_nc_u64_e32 v[14:15], s[14:15], v[0:1]
	v_add_nc_u64_e32 v[24:25], s[12:13], v[12:13]
	v_lshlrev_b32_e32 v26, 1, v6
	v_add_nc_u64_e32 v[12:13], s[16:17], v[0:1]
	v_add_nc_u64_e32 v[16:17], s[8:9], v[18:19]
	;; [unrolled: 1-line block ×3, first 2 shown]
	s_delay_alu instid0(VALU_DEP_4)
	v_add_nc_u64_e32 v[20:21], s[8:9], v[26:27]
	v_add_nc_u64_e32 v[22:23], s[8:9], v[24:25]
	;; [unrolled: 1-line block ×4, first 2 shown]
	s_lshl_b32 s8, s2, 3
	s_mov_b32 s9, s3
	s_mov_b64 s[10:11], 0
	s_branch .LBB22_9
.LBB22_8:                               ;   in Loop: Header=BB22_9 Depth=1
	s_wait_xcnt 0x0
	s_or_b32 exec_lo, exec_lo, s1
	s_add_nc_u64 s[10:11], s[10:11], s[12:13]
	v_add_nc_u64_e32 v[8:9], s[8:9], v[8:9]
	v_cmp_ge_i64_e32 vcc_lo, s[10:11], v[2:3]
	v_add_nc_u64_e32 v[10:11], s[8:9], v[10:11]
	v_add_nc_u64_e32 v[16:17], s[8:9], v[16:17]
	;; [unrolled: 1-line block ×7, first 2 shown]
	s_cbranch_vccnz .LBB22_25
.LBB22_9:                               ; =>This Inner Loop Header: Depth=1
	v_add_nc_u64_e32 v[28:29], s[10:11], v[0:1]
	v_mov_b32_e32 v30, 0
	s_delay_alu instid0(VALU_DEP_2)
	v_cmp_lt_u64_e32 vcc_lo, v[28:29], v[4:5]
	v_mov_b32_e32 v29, 0
	s_and_saveexec_b32 s1, vcc_lo
	s_cbranch_execz .LBB22_11
; %bb.10:                               ;   in Loop: Header=BB22_9 Depth=1
	v_add_nc_u64_e32 v[28:29], s[6:7], v[8:9]
	v_add_nc_u64_e32 v[30:31], s[6:7], v[10:11]
	global_load_u16 v32, v[28:29], off
	global_load_u16 v33, v[30:31], off
	s_wait_loadcnt 0x1
	s_wait_xcnt 0x1
	v_cvt_f32_f16_e32 v29, v32
	s_wait_loadcnt 0x0
	v_cvt_f32_f16_e32 v30, v33
.LBB22_11:                              ;   in Loop: Header=BB22_9 Depth=1
	s_or_b32 exec_lo, exec_lo, s1
	v_add_nc_u64_e32 v[32:33], s[10:11], v[6:7]
	v_dual_mov_b32 v28, 0 :: v_dual_mov_b32 v31, 0
	s_delay_alu instid0(VALU_DEP_2)
	v_cmp_lt_u64_e64 s1, v[32:33], v[4:5]
	v_mov_b32_e32 v32, 0
	s_and_saveexec_b32 s2, s1
	s_cbranch_execz .LBB22_13
; %bb.12:                               ;   in Loop: Header=BB22_9 Depth=1
	v_add_nc_u64_e32 v[32:33], s[6:7], v[20:21]
	v_add_nc_u64_e32 v[34:35], s[6:7], v[26:27]
	global_load_u16 v31, v[32:33], off
	global_load_u16 v36, v[34:35], off
	s_wait_loadcnt 0x1
	v_cvt_f32_f16_e32 v31, v31
	s_wait_loadcnt 0x0
	s_wait_xcnt 0x1
	v_cvt_f32_f16_e32 v32, v36
.LBB22_13:                              ;   in Loop: Header=BB22_9 Depth=1
	s_wait_xcnt 0x0
	s_or_b32 exec_lo, exec_lo, s2
	v_add_nc_u64_e32 v[34:35], s[10:11], v[14:15]
	v_mov_b32_e32 v33, 0
	s_delay_alu instid0(VALU_DEP_2)
	v_cmp_lt_u64_e64 s2, v[34:35], v[4:5]
	s_and_saveexec_b32 s3, s2
	s_cbranch_execz .LBB22_15
; %bb.14:                               ;   in Loop: Header=BB22_9 Depth=1
	v_add_nc_u64_e32 v[34:35], s[6:7], v[22:23]
	v_add_nc_u64_e32 v[36:37], s[6:7], v[24:25]
	global_load_u16 v28, v[34:35], off
	global_load_u16 v38, v[36:37], off
	s_wait_loadcnt 0x1
	v_cvt_f32_f16_e32 v33, v28
	s_wait_loadcnt 0x0
	v_cvt_f32_f16_e32 v28, v38
.LBB22_15:                              ;   in Loop: Header=BB22_9 Depth=1
	s_wait_xcnt 0x0
	s_or_b32 exec_lo, exec_lo, s3
	v_add_nc_u64_e32 v[34:35], s[10:11], v[12:13]
	s_delay_alu instid0(VALU_DEP_1)
	v_cmp_lt_u64_e64 s3, v[34:35], v[4:5]
	v_dual_mov_b32 v34, 0 :: v_dual_mov_b32 v35, 0
	s_and_saveexec_b32 s14, s3
	s_cbranch_execnz .LBB22_20
; %bb.16:                               ;   in Loop: Header=BB22_9 Depth=1
	s_or_b32 exec_lo, exec_lo, s14
	s_and_saveexec_b32 s14, vcc_lo
	s_cbranch_execnz .LBB22_21
.LBB22_17:                              ;   in Loop: Header=BB22_9 Depth=1
	s_or_b32 exec_lo, exec_lo, s14
	s_and_saveexec_b32 s14, s1
	s_cbranch_execnz .LBB22_22
.LBB22_18:                              ;   in Loop: Header=BB22_9 Depth=1
	s_or_b32 exec_lo, exec_lo, s14
	s_and_saveexec_b32 s1, s2
	s_cbranch_execnz .LBB22_23
.LBB22_19:                              ;   in Loop: Header=BB22_9 Depth=1
	s_or_b32 exec_lo, exec_lo, s1
	s_and_saveexec_b32 s1, s3
	s_cbranch_execz .LBB22_8
	s_branch .LBB22_24
.LBB22_20:                              ;   in Loop: Header=BB22_9 Depth=1
	v_add_nc_u64_e32 v[34:35], s[6:7], v[16:17]
	v_add_nc_u64_e32 v[36:37], s[6:7], v[18:19]
	global_load_u16 v38, v[34:35], off
	global_load_u16 v39, v[36:37], off
	s_wait_loadcnt 0x1
	s_wait_xcnt 0x1
	v_cvt_f32_f16_e32 v35, v38
	s_wait_loadcnt 0x0
	v_cvt_f32_f16_e32 v34, v39
	s_wait_xcnt 0x0
	s_or_b32 exec_lo, exec_lo, s14
	s_and_saveexec_b32 s14, vcc_lo
	s_cbranch_execz .LBB22_17
.LBB22_21:                              ;   in Loop: Header=BB22_9 Depth=1
	v_sub_f32_e32 v36, v30, v29
	s_delay_alu instid0(VALU_DEP_1) | instskip(SKIP_1) | instid1(VALU_DEP_2)
	v_dual_fmac_f32 v29, s4, v36 :: v_dual_fma_f32 v30, -s5, v36, v30
	v_add_nc_u64_e32 v[36:37], s[6:7], v[8:9]
	v_cndmask_b32_e64 v29, v30, v29, s0
	s_delay_alu instid0(VALU_DEP_1)
	v_cvt_f16_f32_e32 v29, v29
	global_store_b16 v[36:37], v29, off
	s_wait_xcnt 0x0
	s_or_b32 exec_lo, exec_lo, s14
	s_and_saveexec_b32 s14, s1
	s_cbranch_execz .LBB22_18
.LBB22_22:                              ;   in Loop: Header=BB22_9 Depth=1
	v_sub_f32_e32 v29, v32, v31
	s_delay_alu instid0(VALU_DEP_1) | instskip(NEXT) | instid1(VALU_DEP_1)
	v_dual_fmac_f32 v31, s4, v29 :: v_dual_fma_f32 v29, -s5, v29, v32
	v_cndmask_b32_e64 v29, v29, v31, s0
	v_add_nc_u64_e32 v[30:31], s[6:7], v[20:21]
	s_delay_alu instid0(VALU_DEP_2)
	v_cvt_f16_f32_e32 v29, v29
	global_store_b16 v[30:31], v29, off
	s_wait_xcnt 0x0
	s_or_b32 exec_lo, exec_lo, s14
	s_and_saveexec_b32 s1, s2
	s_cbranch_execz .LBB22_19
.LBB22_23:                              ;   in Loop: Header=BB22_9 Depth=1
	v_sub_f32_e32 v29, v28, v33
	s_delay_alu instid0(VALU_DEP_1) | instskip(NEXT) | instid1(VALU_DEP_1)
	v_dual_fmac_f32 v33, s4, v29 :: v_dual_fma_f32 v28, -s5, v29, v28
	v_cndmask_b32_e64 v30, v28, v33, s0
	v_add_nc_u64_e32 v[28:29], s[6:7], v[22:23]
	s_delay_alu instid0(VALU_DEP_2)
	v_cvt_f16_f32_e32 v30, v30
	global_store_b16 v[28:29], v30, off
	s_wait_xcnt 0x0
	s_or_b32 exec_lo, exec_lo, s1
	s_and_saveexec_b32 s1, s3
	s_cbranch_execz .LBB22_8
.LBB22_24:                              ;   in Loop: Header=BB22_9 Depth=1
	v_sub_f32_e32 v28, v34, v35
	s_delay_alu instid0(VALU_DEP_1) | instskip(NEXT) | instid1(VALU_DEP_1)
	v_dual_fmac_f32 v35, s4, v28 :: v_dual_fma_f32 v28, -s5, v28, v34
	v_cndmask_b32_e64 v30, v28, v35, s0
	v_add_nc_u64_e32 v[28:29], s[6:7], v[16:17]
	s_delay_alu instid0(VALU_DEP_2)
	v_cvt_f16_f32_e32 v30, v30
	global_store_b16 v[28:29], v30, off
	s_branch .LBB22_8
.LBB22_25:
	s_endpgm
	.section	.rodata,"a",@progbits
	.p2align	6, 0x0
	.amdhsa_kernel _ZN2at6native12_GLOBAL__N_125multi_tensor_apply_kernelINS1_18TensorListMetadataILi2EEENS1_22TernaryOpScalarFunctorIN3c104HalfELi2ELi2ELi0EEEJNS0_11LerpFunctorIfEEfEEEvT_T0_DpT1_
		.amdhsa_group_segment_fixed_size 0
		.amdhsa_private_segment_fixed_size 0
		.amdhsa_kernarg_size 3408
		.amdhsa_user_sgpr_count 2
		.amdhsa_user_sgpr_dispatch_ptr 0
		.amdhsa_user_sgpr_queue_ptr 0
		.amdhsa_user_sgpr_kernarg_segment_ptr 1
		.amdhsa_user_sgpr_dispatch_id 0
		.amdhsa_user_sgpr_kernarg_preload_length 0
		.amdhsa_user_sgpr_kernarg_preload_offset 0
		.amdhsa_user_sgpr_private_segment_size 0
		.amdhsa_wavefront_size32 1
		.amdhsa_uses_dynamic_stack 0
		.amdhsa_enable_private_segment 0
		.amdhsa_system_sgpr_workgroup_id_x 1
		.amdhsa_system_sgpr_workgroup_id_y 0
		.amdhsa_system_sgpr_workgroup_id_z 0
		.amdhsa_system_sgpr_workgroup_info 0
		.amdhsa_system_vgpr_workitem_id 0
		.amdhsa_next_free_vgpr 40
		.amdhsa_next_free_sgpr 22
		.amdhsa_named_barrier_count 0
		.amdhsa_reserve_vcc 1
		.amdhsa_float_round_mode_32 0
		.amdhsa_float_round_mode_16_64 0
		.amdhsa_float_denorm_mode_32 3
		.amdhsa_float_denorm_mode_16_64 3
		.amdhsa_fp16_overflow 0
		.amdhsa_memory_ordered 1
		.amdhsa_forward_progress 1
		.amdhsa_inst_pref_size 13
		.amdhsa_round_robin_scheduling 0
		.amdhsa_exception_fp_ieee_invalid_op 0
		.amdhsa_exception_fp_denorm_src 0
		.amdhsa_exception_fp_ieee_div_zero 0
		.amdhsa_exception_fp_ieee_overflow 0
		.amdhsa_exception_fp_ieee_underflow 0
		.amdhsa_exception_fp_ieee_inexact 0
		.amdhsa_exception_int_div_zero 0
	.end_amdhsa_kernel
	.section	.text._ZN2at6native12_GLOBAL__N_125multi_tensor_apply_kernelINS1_18TensorListMetadataILi2EEENS1_22TernaryOpScalarFunctorIN3c104HalfELi2ELi2ELi0EEEJNS0_11LerpFunctorIfEEfEEEvT_T0_DpT1_,"axG",@progbits,_ZN2at6native12_GLOBAL__N_125multi_tensor_apply_kernelINS1_18TensorListMetadataILi2EEENS1_22TernaryOpScalarFunctorIN3c104HalfELi2ELi2ELi0EEEJNS0_11LerpFunctorIfEEfEEEvT_T0_DpT1_,comdat
.Lfunc_end22:
	.size	_ZN2at6native12_GLOBAL__N_125multi_tensor_apply_kernelINS1_18TensorListMetadataILi2EEENS1_22TernaryOpScalarFunctorIN3c104HalfELi2ELi2ELi0EEEJNS0_11LerpFunctorIfEEfEEEvT_T0_DpT1_, .Lfunc_end22-_ZN2at6native12_GLOBAL__N_125multi_tensor_apply_kernelINS1_18TensorListMetadataILi2EEENS1_22TernaryOpScalarFunctorIN3c104HalfELi2ELi2ELi0EEEJNS0_11LerpFunctorIfEEfEEEvT_T0_DpT1_
                                        ; -- End function
	.set _ZN2at6native12_GLOBAL__N_125multi_tensor_apply_kernelINS1_18TensorListMetadataILi2EEENS1_22TernaryOpScalarFunctorIN3c104HalfELi2ELi2ELi0EEEJNS0_11LerpFunctorIfEEfEEEvT_T0_DpT1_.num_vgpr, 40
	.set _ZN2at6native12_GLOBAL__N_125multi_tensor_apply_kernelINS1_18TensorListMetadataILi2EEENS1_22TernaryOpScalarFunctorIN3c104HalfELi2ELi2ELi0EEEJNS0_11LerpFunctorIfEEfEEEvT_T0_DpT1_.num_agpr, 0
	.set _ZN2at6native12_GLOBAL__N_125multi_tensor_apply_kernelINS1_18TensorListMetadataILi2EEENS1_22TernaryOpScalarFunctorIN3c104HalfELi2ELi2ELi0EEEJNS0_11LerpFunctorIfEEfEEEvT_T0_DpT1_.numbered_sgpr, 22
	.set _ZN2at6native12_GLOBAL__N_125multi_tensor_apply_kernelINS1_18TensorListMetadataILi2EEENS1_22TernaryOpScalarFunctorIN3c104HalfELi2ELi2ELi0EEEJNS0_11LerpFunctorIfEEfEEEvT_T0_DpT1_.num_named_barrier, 0
	.set _ZN2at6native12_GLOBAL__N_125multi_tensor_apply_kernelINS1_18TensorListMetadataILi2EEENS1_22TernaryOpScalarFunctorIN3c104HalfELi2ELi2ELi0EEEJNS0_11LerpFunctorIfEEfEEEvT_T0_DpT1_.private_seg_size, 0
	.set _ZN2at6native12_GLOBAL__N_125multi_tensor_apply_kernelINS1_18TensorListMetadataILi2EEENS1_22TernaryOpScalarFunctorIN3c104HalfELi2ELi2ELi0EEEJNS0_11LerpFunctorIfEEfEEEvT_T0_DpT1_.uses_vcc, 1
	.set _ZN2at6native12_GLOBAL__N_125multi_tensor_apply_kernelINS1_18TensorListMetadataILi2EEENS1_22TernaryOpScalarFunctorIN3c104HalfELi2ELi2ELi0EEEJNS0_11LerpFunctorIfEEfEEEvT_T0_DpT1_.uses_flat_scratch, 0
	.set _ZN2at6native12_GLOBAL__N_125multi_tensor_apply_kernelINS1_18TensorListMetadataILi2EEENS1_22TernaryOpScalarFunctorIN3c104HalfELi2ELi2ELi0EEEJNS0_11LerpFunctorIfEEfEEEvT_T0_DpT1_.has_dyn_sized_stack, 0
	.set _ZN2at6native12_GLOBAL__N_125multi_tensor_apply_kernelINS1_18TensorListMetadataILi2EEENS1_22TernaryOpScalarFunctorIN3c104HalfELi2ELi2ELi0EEEJNS0_11LerpFunctorIfEEfEEEvT_T0_DpT1_.has_recursion, 0
	.set _ZN2at6native12_GLOBAL__N_125multi_tensor_apply_kernelINS1_18TensorListMetadataILi2EEENS1_22TernaryOpScalarFunctorIN3c104HalfELi2ELi2ELi0EEEJNS0_11LerpFunctorIfEEfEEEvT_T0_DpT1_.has_indirect_call, 0
	.section	.AMDGPU.csdata,"",@progbits
; Kernel info:
; codeLenInByte = 1556
; TotalNumSgprs: 24
; NumVgprs: 40
; ScratchSize: 0
; MemoryBound: 0
; FloatMode: 240
; IeeeMode: 1
; LDSByteSize: 0 bytes/workgroup (compile time only)
; SGPRBlocks: 0
; VGPRBlocks: 2
; NumSGPRsForWavesPerEU: 24
; NumVGPRsForWavesPerEU: 40
; NamedBarCnt: 0
; Occupancy: 16
; WaveLimiterHint : 0
; COMPUTE_PGM_RSRC2:SCRATCH_EN: 0
; COMPUTE_PGM_RSRC2:USER_SGPR: 2
; COMPUTE_PGM_RSRC2:TRAP_HANDLER: 0
; COMPUTE_PGM_RSRC2:TGID_X_EN: 1
; COMPUTE_PGM_RSRC2:TGID_Y_EN: 0
; COMPUTE_PGM_RSRC2:TGID_Z_EN: 0
; COMPUTE_PGM_RSRC2:TIDIG_COMP_CNT: 0
	.section	.text._ZN2at6native12_GLOBAL__N_125multi_tensor_apply_kernelINS1_18TensorListMetadataILi2EEENS1_22TernaryOpScalarFunctorIN3c108BFloat16ELi2ELi2ELi0EEEJNS0_11LerpFunctorIfEEfEEEvT_T0_DpT1_,"axG",@progbits,_ZN2at6native12_GLOBAL__N_125multi_tensor_apply_kernelINS1_18TensorListMetadataILi2EEENS1_22TernaryOpScalarFunctorIN3c108BFloat16ELi2ELi2ELi0EEEJNS0_11LerpFunctorIfEEfEEEvT_T0_DpT1_,comdat
	.globl	_ZN2at6native12_GLOBAL__N_125multi_tensor_apply_kernelINS1_18TensorListMetadataILi2EEENS1_22TernaryOpScalarFunctorIN3c108BFloat16ELi2ELi2ELi0EEEJNS0_11LerpFunctorIfEEfEEEvT_T0_DpT1_ ; -- Begin function _ZN2at6native12_GLOBAL__N_125multi_tensor_apply_kernelINS1_18TensorListMetadataILi2EEENS1_22TernaryOpScalarFunctorIN3c108BFloat16ELi2ELi2ELi0EEEJNS0_11LerpFunctorIfEEfEEEvT_T0_DpT1_
	.p2align	8
	.type	_ZN2at6native12_GLOBAL__N_125multi_tensor_apply_kernelINS1_18TensorListMetadataILi2EEENS1_22TernaryOpScalarFunctorIN3c108BFloat16ELi2ELi2ELi0EEEJNS0_11LerpFunctorIfEEfEEEvT_T0_DpT1_,@function
_ZN2at6native12_GLOBAL__N_125multi_tensor_apply_kernelINS1_18TensorListMetadataILi2EEENS1_22TernaryOpScalarFunctorIN3c108BFloat16ELi2ELi2ELi0EEEJNS0_11LerpFunctorIfEEfEEEvT_T0_DpT1_: ; @_ZN2at6native12_GLOBAL__N_125multi_tensor_apply_kernelINS1_18TensorListMetadataILi2EEENS1_22TernaryOpScalarFunctorIN3c108BFloat16ELi2ELi2ELi0EEEJNS0_11LerpFunctorIfEEfEEEvT_T0_DpT1_
; %bb.0:
	s_bfe_u32 s2, ttmp6, 0x4000c
	s_and_b32 s3, ttmp6, 15
	s_add_co_i32 s2, s2, 1
	s_getreg_b32 s4, hwreg(HW_REG_IB_STS2, 6, 4)
	s_mul_i32 s2, ttmp9, s2
	s_delay_alu instid0(SALU_CYCLE_1)
	s_add_co_i32 s3, s3, s2
	s_cmp_eq_u32 s4, 0
	s_cselect_b32 s2, ttmp9, s3
	s_mov_b32 s3, 0
	s_load_u8 s14, s[0:1], s2 offset:0x600
	s_add_nc_u64 s[4:5], s[0:1], s[2:3]
	s_mul_u64 s[6:7], s[2:3], 3
	s_mov_b32 s15, s3
	s_add_nc_u64 s[4:5], s[4:5], s[6:7]
	s_load_b32 s6, s[4:5], 0x740
	s_wait_kmcnt 0x0
	s_clause 0x3
	s_load_b64 s[8:9], s[0:1], s14 offset:0x0 scale_offset
	s_load_b64 s[10:11], s[0:1], s14 offset:0x200 scale_offset
	;; [unrolled: 1-line block ×3, first 2 shown]
	s_load_b32 s16, s[0:1], 0xc4c
	s_ashr_i32 s7, s6, 31
	s_delay_alu instid0(SALU_CYCLE_1)
	s_lshl_b64 s[4:5], s[6:7], 17
	s_wait_kmcnt 0x0
	s_and_b64 s[20:21], s[10:11], 7
	s_add_nc_u64 s[18:19], s[8:9], s[4:5]
	s_and_b32 s14, s12, 3
	s_and_b32 s2, s18, 7
	s_or_b64 s[14:15], s[20:21], s[14:15]
	s_lshl_b64 s[6:7], s[6:7], 16
	s_or_b64 s[2:3], s[14:15], s[2:3]
	s_sub_nc_u64 s[12:13], s[12:13], s[6:7]
	s_cmp_eq_u64 s[2:3], 0
	s_mov_b32 s2, -1
	s_cbranch_scc0 .LBB23_5
; %bb.1:
	v_min_i64 v[2:3], 0x10000, s[12:13]
	v_dual_mov_b32 v5, 0 :: v_dual_lshlrev_b32 v4, 2, v0
	s_mov_b32 s17, exec_lo
	s_delay_alu instid0(VALU_DEP_1)
	v_cmpx_lt_i64_e64 v[4:5], v[2:3]
	s_cbranch_execz .LBB23_4
; %bb.2:
	s_load_b32 s2, s[0:1], 0xc5c
	v_dual_mov_b32 v1, v5 :: v_dual_lshlrev_b32 v4, 3, v0
	s_and_b32 s3, s16, 0x7fffffff
	s_sub_f32 s18, 1.0, s16
	s_cmp_lt_f32 s3, 0.5
	s_delay_alu instid0(VALU_DEP_1)
	v_mov_b64_e32 v[6:7], v[0:1]
	v_add_nc_u64_e32 v[4:5], s[4:5], v[4:5]
	s_mov_b32 s7, 0
	s_cselect_b32 vcc_lo, -1, 0
	s_mov_b32 s15, s7
	s_mov_b32 s19, s7
	s_wait_kmcnt 0x0
	s_and_b32 s6, s2, 0xffff
	s_delay_alu instid0(SALU_CYCLE_1)
	s_lshl_b32 s14, s6, 3
.LBB23_3:                               ; =>This Inner Loop Header: Depth=1
	v_add_nc_u64_e32 v[8:9], s[8:9], v[4:5]
	v_add_nc_u64_e32 v[10:11], s[10:11], v[4:5]
	;; [unrolled: 1-line block ×4, first 2 shown]
	global_load_b64 v[12:13], v[8:9], off
	global_load_b64 v[14:15], v[10:11], off
	s_wait_xcnt 0x0
	v_lshlrev_b64_e32 v[10:11], 2, v[6:7]
	s_wait_loadcnt 0x0
	v_dual_lshlrev_b32 v1, 16, v12 :: v_dual_lshlrev_b32 v16, 16, v14
	v_and_b32_e32 v17, 0xffff0000, v12
	v_and_b32_e32 v18, 0xffff0000, v14
	v_alignbit_b32 v19, v13, v12, 16
	v_alignbit_b32 v20, v15, v14, 16
	v_and_b32_e32 v21, 0xffff0000, v13
	v_and_b32_e32 v22, 0xffff0000, v15
	v_sub_f32_e32 v1, v16, v1
	s_delay_alu instid0(VALU_DEP_2) | instskip(NEXT) | instid1(VALU_DEP_2)
	v_sub_f32_e32 v21, v22, v21
	v_fma_mix_f32_bf16 v22, s16, v1, v12 op_sel_hi:[0,0,1]
	v_fma_mix_f32_bf16 v1, -s18, v1, v14 op_sel_hi:[0,0,1]
	v_sub_f32_e32 v16, v18, v17
	v_and_b32_e32 v17, 0xffff0000, v19
	v_and_b32_e32 v18, 0xffff0000, v20
	s_delay_alu instid0(VALU_DEP_4) | instskip(NEXT) | instid1(VALU_DEP_4)
	v_cndmask_b32_e32 v1, v1, v22, vcc_lo
	v_fma_mix_f32_bf16 v12, s16, v16, v12 op_sel:[0,0,1] op_sel_hi:[0,0,1]
	v_fma_mix_f32_bf16 v14, -s18, v16, v14 op_sel:[0,0,1] op_sel_hi:[0,0,1]
	s_delay_alu instid0(VALU_DEP_4) | instskip(NEXT) | instid1(VALU_DEP_4)
	v_sub_f32_e32 v16, v18, v17
	v_cmp_o_f32_e64 s3, v1, v1
	s_delay_alu instid0(VALU_DEP_3) | instskip(NEXT) | instid1(VALU_DEP_3)
	v_cndmask_b32_e32 v12, v14, v12, vcc_lo
	v_fma_mix_f32_bf16 v14, s16, v16, v19 op_sel:[0,0,1] op_sel_hi:[0,0,1]
	v_fma_mix_f32_bf16 v16, -s18, v16, v20 op_sel:[0,0,1] op_sel_hi:[0,0,1]
	s_delay_alu instid0(VALU_DEP_3) | instskip(SKIP_1) | instid1(VALU_DEP_3)
	v_bfe_u32 v17, v12, 16, 1
	v_cmp_o_f32_e64 s2, v12, v12
	v_cndmask_b32_e32 v14, v16, v14, vcc_lo
	v_fma_mix_f32_bf16 v13, s16, v21, v13 op_sel:[0,0,1] op_sel_hi:[0,0,1]
	v_fma_mix_f32_bf16 v15, -s18, v21, v15 op_sel:[0,0,1] op_sel_hi:[0,0,1]
	v_add3_u32 v17, v12, v17, 0x7fff
	s_delay_alu instid0(VALU_DEP_4) | instskip(NEXT) | instid1(VALU_DEP_2)
	v_bfe_u32 v18, v14, 16, 1
	v_and_b32_e32 v17, 0xffff0000, v17
	s_delay_alu instid0(VALU_DEP_2) | instskip(SKIP_2) | instid1(VALU_DEP_1)
	v_add3_u32 v18, v14, v18, 0x7fff
	v_cndmask_b32_e32 v13, v15, v13, vcc_lo
	v_bfe_u32 v15, v1, 16, 1
	v_add3_u32 v15, v1, v15, 0x7fff
	s_delay_alu instid0(VALU_DEP_1) | instskip(NEXT) | instid1(VALU_DEP_1)
	v_lshrrev_b32_e32 v15, 16, v15
	v_cndmask_b32_e64 v1, 0x7fc0, v15, s3
	v_lshrrev_b32_e32 v15, 16, v18
	v_bfe_u32 v16, v13, 16, 1
	s_delay_alu instid0(VALU_DEP_1) | instskip(NEXT) | instid1(VALU_DEP_1)
	v_add3_u32 v16, v13, v16, 0x7fff
	v_and_b32_e32 v12, 0xffff0000, v16
	v_cndmask_b32_e64 v16, 0x7fc00000, v17, s2
	v_cmp_o_f32_e64 s2, v13, v13
	s_delay_alu instid0(VALU_DEP_2) | instskip(NEXT) | instid1(VALU_DEP_2)
	v_or_b32_e32 v1, v1, v16
	v_cndmask_b32_e64 v12, 0x7fc00000, v12, s2
	v_cmp_o_f32_e64 s2, v14, v14
	s_delay_alu instid0(VALU_DEP_1) | instskip(SKIP_2) | instid1(VALU_DEP_3)
	v_cndmask_b32_e64 v13, 0x7fc0, v15, s2
	v_cmp_ge_i64_e64 s2, v[10:11], v[2:3]
	v_or3_b32 v10, v1, 0, 0
	v_or3_b32 v11, 0, v13, v12
	s_or_b32 s19, s2, s19
	global_store_b64 v[8:9], v[10:11], off
	s_wait_xcnt 0x0
	s_and_not1_b32 exec_lo, exec_lo, s19
	s_cbranch_execnz .LBB23_3
.LBB23_4:
	s_or_b32 exec_lo, exec_lo, s17
	s_mov_b32 s2, 0
.LBB23_5:
	s_delay_alu instid0(SALU_CYCLE_1)
	s_and_not1_b32 vcc_lo, exec_lo, s2
	s_cbranch_vccnz .LBB23_25
; %bb.6:
	v_cmp_lt_i64_e64 s2, s[12:13], 1
	s_and_b32 vcc_lo, exec_lo, s2
	s_cbranch_vccnz .LBB23_25
; %bb.7:
	s_load_b32 s0, s[0:1], 0xc5c
	v_min_i64 v[2:3], 0x10000, s[12:13]
	v_min_u64 v[6:7], 0x10000, s[12:13]
	v_dual_mov_b32 v4, 0 :: v_dual_lshlrev_b32 v14, 1, v0
	s_mov_b32 s7, 0
	s_wait_xcnt 0x0
	s_and_b32 s1, s16, 0x7fffffff
	s_mov_b32 s3, s7
	v_dual_mov_b32 v15, v4 :: v_dual_mov_b32 v1, v4
	s_mov_b32 s13, s7
	s_mov_b32 s15, s7
	s_delay_alu instid0(VALU_DEP_1) | instskip(SKIP_3) | instid1(SALU_CYCLE_1)
	v_add_nc_u64_e32 v[10:11], s[8:9], v[14:15]
	v_add_nc_u64_e32 v[12:13], s[10:11], v[14:15]
	s_wait_kmcnt 0x0
	s_and_b32 s2, s0, 0xffff
	s_lshl_b32 s12, s2, 1
	s_cmp_lt_f32 s1, 0.5
	v_add_nc_u64_e32 v[8:9], s[2:3], v[0:1]
	v_mad_nc_u64_u32 v[20:21], s2, 6, v[14:15]
	v_mov_b32_e32 v29, v4
	s_cselect_b32 s0, -1, 0
	s_lshl_b32 s6, s2, 2
	s_mul_i32 s14, s2, 3
	v_add_nc_u64_e32 v[26:27], s[6:7], v[14:15]
	v_lshlrev_b32_e32 v28, 1, v8
	v_add_nc_u64_e32 v[14:15], s[14:15], v[0:1]
	v_add_nc_u64_e32 v[16:17], s[12:13], v[0:1]
	s_sub_f32 s12, 1.0, s16
	v_add_nc_u64_e32 v[18:19], s[8:9], v[20:21]
	v_add_nc_u64_e32 v[20:21], s[10:11], v[20:21]
	;; [unrolled: 1-line block ×6, first 2 shown]
	s_lshl_b32 s8, s2, 3
	s_mov_b32 s9, s7
	s_mov_b64 s[10:11], 0
	s_branch .LBB23_9
.LBB23_8:                               ;   in Loop: Header=BB23_9 Depth=1
	s_wait_xcnt 0x0
	s_or_b32 exec_lo, exec_lo, s1
	s_add_nc_u64 s[10:11], s[10:11], s[6:7]
	v_add_nc_u64_e32 v[10:11], s[8:9], v[10:11]
	v_cmp_ge_i64_e32 vcc_lo, s[10:11], v[2:3]
	v_add_nc_u64_e32 v[12:13], s[8:9], v[12:13]
	v_add_nc_u64_e32 v[18:19], s[8:9], v[18:19]
	;; [unrolled: 1-line block ×7, first 2 shown]
	s_cbranch_vccnz .LBB23_25
.LBB23_9:                               ; =>This Inner Loop Header: Depth=1
	v_add_nc_u64_e32 v[32:33], s[10:11], v[0:1]
	v_mov_b64_e32 v[30:31], 0
	s_delay_alu instid0(VALU_DEP_2)
	v_cmp_lt_u64_e32 vcc_lo, v[32:33], v[6:7]
	v_mov_b64_e32 v[32:33], 0
	s_and_saveexec_b32 s1, vcc_lo
	s_cbranch_execz .LBB23_11
; %bb.10:                               ;   in Loop: Header=BB23_9 Depth=1
	v_add_nc_u64_e32 v[30:31], s[4:5], v[10:11]
	v_add_nc_u64_e32 v[32:33], s[4:5], v[12:13]
	global_load_u16 v5, v[30:31], off
	global_load_u16 v34, v[32:33], off
	s_wait_xcnt 0x0
	v_dual_mov_b32 v33, s7 :: v_dual_mov_b32 v31, s7
	s_wait_loadcnt 0x1
	v_and_b32_e32 v32, 0xffff, v5
	s_wait_loadcnt 0x0
	v_and_b32_e32 v30, 0xffff, v34
.LBB23_11:                              ;   in Loop: Header=BB23_9 Depth=1
	s_or_b32 exec_lo, exec_lo, s1
	v_add_nc_u64_e32 v[34:35], s[10:11], v[8:9]
	s_delay_alu instid0(VALU_DEP_1)
	v_cmp_lt_u64_e64 s1, v[34:35], v[6:7]
	s_and_saveexec_b32 s2, s1
	s_cbranch_execz .LBB23_13
; %bb.12:                               ;   in Loop: Header=BB23_9 Depth=1
	v_add_nc_u64_e32 v[34:35], s[4:5], v[22:23]
	v_add_nc_u64_e32 v[36:37], s[4:5], v[28:29]
	global_load_u16 v5, v[34:35], off
	global_load_u16 v38, v[36:37], off
	s_wait_loadcnt 0x1
	v_lshl_or_b32 v32, v5, 16, v32
	s_wait_loadcnt 0x0
	v_lshl_or_b32 v30, v38, 16, v30
.LBB23_13:                              ;   in Loop: Header=BB23_9 Depth=1
	s_wait_xcnt 0x0
	s_or_b32 exec_lo, exec_lo, s2
	v_add_nc_u64_e32 v[34:35], s[10:11], v[16:17]
	s_delay_alu instid0(VALU_DEP_1) | instskip(SKIP_2) | instid1(SALU_CYCLE_1)
	v_cmp_lt_u64_e64 s2, v[34:35], v[6:7]
	v_cmp_ge_u64_e64 s3, v[34:35], v[6:7]
	s_and_saveexec_b32 s13, s3
	s_xor_b32 s3, exec_lo, s13
	s_delay_alu instid0(SALU_CYCLE_1)
	s_and_not1_saveexec_b32 s3, s3
	s_cbranch_execz .LBB23_15
; %bb.14:                               ;   in Loop: Header=BB23_9 Depth=1
	v_add_nc_u64_e32 v[34:35], s[4:5], v[24:25]
	v_add_nc_u64_e32 v[36:37], s[4:5], v[26:27]
	global_load_u16 v5, v[34:35], off
	global_load_u16 v38, v[36:37], off
	s_wait_loadcnt 0x1
	v_or_b32_e32 v33, v5, v33
	s_wait_loadcnt 0x0
	v_or_b32_e32 v31, v38, v31
.LBB23_15:                              ;   in Loop: Header=BB23_9 Depth=1
	s_wait_xcnt 0x0
	s_or_b32 exec_lo, exec_lo, s3
	v_add_nc_u64_e32 v[34:35], s[10:11], v[14:15]
	s_delay_alu instid0(VALU_DEP_1)
	v_cmp_lt_u64_e64 s3, v[34:35], v[6:7]
	s_and_saveexec_b32 s13, s3
	s_cbranch_execnz .LBB23_20
; %bb.16:                               ;   in Loop: Header=BB23_9 Depth=1
	s_or_b32 exec_lo, exec_lo, s13
	s_and_saveexec_b32 s13, vcc_lo
	s_cbranch_execnz .LBB23_21
.LBB23_17:                              ;   in Loop: Header=BB23_9 Depth=1
	s_or_b32 exec_lo, exec_lo, s13
	s_and_saveexec_b32 s13, s1
	s_cbranch_execnz .LBB23_22
.LBB23_18:                              ;   in Loop: Header=BB23_9 Depth=1
	s_or_b32 exec_lo, exec_lo, s13
	s_and_saveexec_b32 s1, s2
	s_cbranch_execnz .LBB23_23
.LBB23_19:                              ;   in Loop: Header=BB23_9 Depth=1
	s_or_b32 exec_lo, exec_lo, s1
	s_and_saveexec_b32 s1, s3
	s_cbranch_execz .LBB23_8
	s_branch .LBB23_24
.LBB23_20:                              ;   in Loop: Header=BB23_9 Depth=1
	v_add_nc_u64_e32 v[34:35], s[4:5], v[20:21]
	v_add_nc_u64_e32 v[36:37], s[4:5], v[18:19]
	global_load_u16 v5, v[34:35], off
	global_load_u16 v38, v[36:37], off
	s_wait_loadcnt 0x0
	s_wait_xcnt 0x1
	v_dual_lshlrev_b32 v5, 16, v5 :: v_dual_lshlrev_b32 v34, 16, v38
	s_delay_alu instid0(VALU_DEP_1) | instskip(NEXT) | instid1(VALU_DEP_2)
	v_add_nc_u64_e32 v[30:31], v[4:5], v[30:31]
	v_or_b32_e32 v33, v34, v33
	s_wait_xcnt 0x0
	s_or_b32 exec_lo, exec_lo, s13
	s_and_saveexec_b32 s13, vcc_lo
	s_cbranch_execz .LBB23_17
.LBB23_21:                              ;   in Loop: Header=BB23_9 Depth=1
	s_delay_alu instid0(VALU_DEP_2) | instskip(NEXT) | instid1(VALU_DEP_1)
	v_dual_lshlrev_b32 v5, 16, v30 :: v_dual_lshlrev_b32 v34, 16, v32
	v_sub_f32_e32 v5, v5, v34
	s_delay_alu instid0(VALU_DEP_1) | instskip(SKIP_1) | instid1(VALU_DEP_1)
	v_fma_mix_f32_bf16 v34, s16, v5, v32 op_sel_hi:[0,0,1]
	v_fma_mix_f32_bf16 v5, -s12, v5, v30 op_sel_hi:[0,0,1]
	v_cndmask_b32_e64 v5, v5, v34, s0
	s_delay_alu instid0(VALU_DEP_1) | instskip(SKIP_1) | instid1(VALU_DEP_2)
	v_bfe_u32 v34, v5, 16, 1
	v_cmp_o_f32_e32 vcc_lo, v5, v5
	v_add3_u32 v34, v5, v34, 0x7fff
	s_delay_alu instid0(VALU_DEP_1) | instskip(SKIP_1) | instid1(VALU_DEP_2)
	v_lshrrev_b32_e32 v36, 16, v34
	v_add_nc_u64_e32 v[34:35], s[4:5], v[10:11]
	v_cndmask_b32_e32 v5, 0x7fc0, v36, vcc_lo
	global_store_b16 v[34:35], v5, off
	s_wait_xcnt 0x0
	s_or_b32 exec_lo, exec_lo, s13
	s_and_saveexec_b32 s13, s1
	s_cbranch_execz .LBB23_18
.LBB23_22:                              ;   in Loop: Header=BB23_9 Depth=1
	v_and_b32_e32 v5, 0xffff0000, v32
	v_and_b32_e32 v34, 0xffff0000, v30
	s_delay_alu instid0(VALU_DEP_1) | instskip(NEXT) | instid1(VALU_DEP_1)
	v_sub_f32_e32 v5, v34, v5
	v_fma_mix_f32_bf16 v34, s16, v5, v32 op_sel:[0,0,1] op_sel_hi:[0,0,1]
	v_fma_mix_f32_bf16 v5, -s12, v5, v30 op_sel:[0,0,1] op_sel_hi:[0,0,1]
	s_delay_alu instid0(VALU_DEP_1) | instskip(NEXT) | instid1(VALU_DEP_1)
	v_cndmask_b32_e64 v5, v5, v34, s0
	v_bfe_u32 v34, v5, 16, 1
	v_cmp_o_f32_e32 vcc_lo, v5, v5
	s_delay_alu instid0(VALU_DEP_2) | instskip(NEXT) | instid1(VALU_DEP_1)
	v_add3_u32 v34, v5, v34, 0x7fff
	v_lshrrev_b32_e32 v36, 16, v34
	v_add_nc_u64_e32 v[34:35], s[4:5], v[22:23]
	s_delay_alu instid0(VALU_DEP_2)
	v_cndmask_b32_e32 v5, 0x7fc0, v36, vcc_lo
	global_store_b16 v[34:35], v5, off
	s_wait_xcnt 0x0
	s_or_b32 exec_lo, exec_lo, s13
	s_and_saveexec_b32 s1, s2
	s_cbranch_execz .LBB23_19
.LBB23_23:                              ;   in Loop: Header=BB23_9 Depth=1
	v_alignbit_b32 v5, v33, v32, 16
	v_alignbit_b32 v30, v31, v30, 16
	s_delay_alu instid0(VALU_DEP_2) | instskip(NEXT) | instid1(VALU_DEP_2)
	v_and_b32_e32 v32, 0xffff0000, v5
	v_and_b32_e32 v34, 0xffff0000, v30
	s_delay_alu instid0(VALU_DEP_1) | instskip(SKIP_1) | instid1(VALU_DEP_2)
	v_sub_f32_e32 v32, v34, v32
	v_add_nc_u64_e32 v[34:35], s[4:5], v[24:25]
	v_fma_mix_f32_bf16 v5, s16, v32, v5 op_sel:[0,0,1] op_sel_hi:[0,0,1]
	v_fma_mix_f32_bf16 v30, -s12, v32, v30 op_sel:[0,0,1] op_sel_hi:[0,0,1]
	s_delay_alu instid0(VALU_DEP_1) | instskip(NEXT) | instid1(VALU_DEP_1)
	v_cndmask_b32_e64 v5, v30, v5, s0
	v_bfe_u32 v30, v5, 16, 1
	v_cmp_o_f32_e32 vcc_lo, v5, v5
	s_delay_alu instid0(VALU_DEP_2) | instskip(NEXT) | instid1(VALU_DEP_1)
	v_add3_u32 v30, v5, v30, 0x7fff
	v_lshrrev_b32_e32 v30, 16, v30
	s_delay_alu instid0(VALU_DEP_1)
	v_cndmask_b32_e32 v5, 0x7fc0, v30, vcc_lo
	global_store_b16 v[34:35], v5, off
	s_wait_xcnt 0x0
	s_or_b32 exec_lo, exec_lo, s1
	s_and_saveexec_b32 s1, s3
	s_cbranch_execz .LBB23_8
.LBB23_24:                              ;   in Loop: Header=BB23_9 Depth=1
	v_and_b32_e32 v5, 0xffff0000, v33
	v_and_b32_e32 v30, 0xffff0000, v31
	s_delay_alu instid0(VALU_DEP_1) | instskip(NEXT) | instid1(VALU_DEP_1)
	v_sub_f32_e32 v5, v30, v5
	v_fma_mix_f32_bf16 v30, s16, v5, v33 op_sel:[0,0,1] op_sel_hi:[0,0,1]
	v_fma_mix_f32_bf16 v5, -s12, v5, v31 op_sel:[0,0,1] op_sel_hi:[0,0,1]
	s_delay_alu instid0(VALU_DEP_1) | instskip(NEXT) | instid1(VALU_DEP_1)
	v_cndmask_b32_e64 v5, v5, v30, s0
	v_bfe_u32 v30, v5, 16, 1
	v_cmp_o_f32_e32 vcc_lo, v5, v5
	s_delay_alu instid0(VALU_DEP_2) | instskip(NEXT) | instid1(VALU_DEP_1)
	v_add3_u32 v30, v5, v30, 0x7fff
	v_lshrrev_b32_e32 v32, 16, v30
	v_add_nc_u64_e32 v[30:31], s[4:5], v[18:19]
	s_delay_alu instid0(VALU_DEP_2)
	v_cndmask_b32_e32 v5, 0x7fc0, v32, vcc_lo
	global_store_b16 v[30:31], v5, off
	s_branch .LBB23_8
.LBB23_25:
	s_endpgm
	.section	.rodata,"a",@progbits
	.p2align	6, 0x0
	.amdhsa_kernel _ZN2at6native12_GLOBAL__N_125multi_tensor_apply_kernelINS1_18TensorListMetadataILi2EEENS1_22TernaryOpScalarFunctorIN3c108BFloat16ELi2ELi2ELi0EEEJNS0_11LerpFunctorIfEEfEEEvT_T0_DpT1_
		.amdhsa_group_segment_fixed_size 0
		.amdhsa_private_segment_fixed_size 0
		.amdhsa_kernarg_size 3408
		.amdhsa_user_sgpr_count 2
		.amdhsa_user_sgpr_dispatch_ptr 0
		.amdhsa_user_sgpr_queue_ptr 0
		.amdhsa_user_sgpr_kernarg_segment_ptr 1
		.amdhsa_user_sgpr_dispatch_id 0
		.amdhsa_user_sgpr_kernarg_preload_length 0
		.amdhsa_user_sgpr_kernarg_preload_offset 0
		.amdhsa_user_sgpr_private_segment_size 0
		.amdhsa_wavefront_size32 1
		.amdhsa_uses_dynamic_stack 0
		.amdhsa_enable_private_segment 0
		.amdhsa_system_sgpr_workgroup_id_x 1
		.amdhsa_system_sgpr_workgroup_id_y 0
		.amdhsa_system_sgpr_workgroup_id_z 0
		.amdhsa_system_sgpr_workgroup_info 0
		.amdhsa_system_vgpr_workitem_id 0
		.amdhsa_next_free_vgpr 39
		.amdhsa_next_free_sgpr 22
		.amdhsa_named_barrier_count 0
		.amdhsa_reserve_vcc 1
		.amdhsa_float_round_mode_32 0
		.amdhsa_float_round_mode_16_64 0
		.amdhsa_float_denorm_mode_32 3
		.amdhsa_float_denorm_mode_16_64 3
		.amdhsa_fp16_overflow 0
		.amdhsa_memory_ordered 1
		.amdhsa_forward_progress 1
		.amdhsa_inst_pref_size 17
		.amdhsa_round_robin_scheduling 0
		.amdhsa_exception_fp_ieee_invalid_op 0
		.amdhsa_exception_fp_denorm_src 0
		.amdhsa_exception_fp_ieee_div_zero 0
		.amdhsa_exception_fp_ieee_overflow 0
		.amdhsa_exception_fp_ieee_underflow 0
		.amdhsa_exception_fp_ieee_inexact 0
		.amdhsa_exception_int_div_zero 0
	.end_amdhsa_kernel
	.section	.text._ZN2at6native12_GLOBAL__N_125multi_tensor_apply_kernelINS1_18TensorListMetadataILi2EEENS1_22TernaryOpScalarFunctorIN3c108BFloat16ELi2ELi2ELi0EEEJNS0_11LerpFunctorIfEEfEEEvT_T0_DpT1_,"axG",@progbits,_ZN2at6native12_GLOBAL__N_125multi_tensor_apply_kernelINS1_18TensorListMetadataILi2EEENS1_22TernaryOpScalarFunctorIN3c108BFloat16ELi2ELi2ELi0EEEJNS0_11LerpFunctorIfEEfEEEvT_T0_DpT1_,comdat
.Lfunc_end23:
	.size	_ZN2at6native12_GLOBAL__N_125multi_tensor_apply_kernelINS1_18TensorListMetadataILi2EEENS1_22TernaryOpScalarFunctorIN3c108BFloat16ELi2ELi2ELi0EEEJNS0_11LerpFunctorIfEEfEEEvT_T0_DpT1_, .Lfunc_end23-_ZN2at6native12_GLOBAL__N_125multi_tensor_apply_kernelINS1_18TensorListMetadataILi2EEENS1_22TernaryOpScalarFunctorIN3c108BFloat16ELi2ELi2ELi0EEEJNS0_11LerpFunctorIfEEfEEEvT_T0_DpT1_
                                        ; -- End function
	.set _ZN2at6native12_GLOBAL__N_125multi_tensor_apply_kernelINS1_18TensorListMetadataILi2EEENS1_22TernaryOpScalarFunctorIN3c108BFloat16ELi2ELi2ELi0EEEJNS0_11LerpFunctorIfEEfEEEvT_T0_DpT1_.num_vgpr, 39
	.set _ZN2at6native12_GLOBAL__N_125multi_tensor_apply_kernelINS1_18TensorListMetadataILi2EEENS1_22TernaryOpScalarFunctorIN3c108BFloat16ELi2ELi2ELi0EEEJNS0_11LerpFunctorIfEEfEEEvT_T0_DpT1_.num_agpr, 0
	.set _ZN2at6native12_GLOBAL__N_125multi_tensor_apply_kernelINS1_18TensorListMetadataILi2EEENS1_22TernaryOpScalarFunctorIN3c108BFloat16ELi2ELi2ELi0EEEJNS0_11LerpFunctorIfEEfEEEvT_T0_DpT1_.numbered_sgpr, 22
	.set _ZN2at6native12_GLOBAL__N_125multi_tensor_apply_kernelINS1_18TensorListMetadataILi2EEENS1_22TernaryOpScalarFunctorIN3c108BFloat16ELi2ELi2ELi0EEEJNS0_11LerpFunctorIfEEfEEEvT_T0_DpT1_.num_named_barrier, 0
	.set _ZN2at6native12_GLOBAL__N_125multi_tensor_apply_kernelINS1_18TensorListMetadataILi2EEENS1_22TernaryOpScalarFunctorIN3c108BFloat16ELi2ELi2ELi0EEEJNS0_11LerpFunctorIfEEfEEEvT_T0_DpT1_.private_seg_size, 0
	.set _ZN2at6native12_GLOBAL__N_125multi_tensor_apply_kernelINS1_18TensorListMetadataILi2EEENS1_22TernaryOpScalarFunctorIN3c108BFloat16ELi2ELi2ELi0EEEJNS0_11LerpFunctorIfEEfEEEvT_T0_DpT1_.uses_vcc, 1
	.set _ZN2at6native12_GLOBAL__N_125multi_tensor_apply_kernelINS1_18TensorListMetadataILi2EEENS1_22TernaryOpScalarFunctorIN3c108BFloat16ELi2ELi2ELi0EEEJNS0_11LerpFunctorIfEEfEEEvT_T0_DpT1_.uses_flat_scratch, 0
	.set _ZN2at6native12_GLOBAL__N_125multi_tensor_apply_kernelINS1_18TensorListMetadataILi2EEENS1_22TernaryOpScalarFunctorIN3c108BFloat16ELi2ELi2ELi0EEEJNS0_11LerpFunctorIfEEfEEEvT_T0_DpT1_.has_dyn_sized_stack, 0
	.set _ZN2at6native12_GLOBAL__N_125multi_tensor_apply_kernelINS1_18TensorListMetadataILi2EEENS1_22TernaryOpScalarFunctorIN3c108BFloat16ELi2ELi2ELi0EEEJNS0_11LerpFunctorIfEEfEEEvT_T0_DpT1_.has_recursion, 0
	.set _ZN2at6native12_GLOBAL__N_125multi_tensor_apply_kernelINS1_18TensorListMetadataILi2EEENS1_22TernaryOpScalarFunctorIN3c108BFloat16ELi2ELi2ELi0EEEJNS0_11LerpFunctorIfEEfEEEvT_T0_DpT1_.has_indirect_call, 0
	.section	.AMDGPU.csdata,"",@progbits
; Kernel info:
; codeLenInByte = 2064
; TotalNumSgprs: 24
; NumVgprs: 39
; ScratchSize: 0
; MemoryBound: 0
; FloatMode: 240
; IeeeMode: 1
; LDSByteSize: 0 bytes/workgroup (compile time only)
; SGPRBlocks: 0
; VGPRBlocks: 2
; NumSGPRsForWavesPerEU: 24
; NumVGPRsForWavesPerEU: 39
; NamedBarCnt: 0
; Occupancy: 16
; WaveLimiterHint : 0
; COMPUTE_PGM_RSRC2:SCRATCH_EN: 0
; COMPUTE_PGM_RSRC2:USER_SGPR: 2
; COMPUTE_PGM_RSRC2:TRAP_HANDLER: 0
; COMPUTE_PGM_RSRC2:TGID_X_EN: 1
; COMPUTE_PGM_RSRC2:TGID_Y_EN: 0
; COMPUTE_PGM_RSRC2:TGID_Z_EN: 0
; COMPUTE_PGM_RSRC2:TIDIG_COMP_CNT: 0
	.section	.text._ZN2at6native12_GLOBAL__N_125multi_tensor_apply_kernelINS1_28TensorListScalarListMetadataIdLi3EEENS1_26TernaryOpScalarListFunctorIdLi3ELi2ELi2EEEJNS0_11LerpFunctorIdEEEEEvT_T0_DpT1_,"axG",@progbits,_ZN2at6native12_GLOBAL__N_125multi_tensor_apply_kernelINS1_28TensorListScalarListMetadataIdLi3EEENS1_26TernaryOpScalarListFunctorIdLi3ELi2ELi2EEEJNS0_11LerpFunctorIdEEEEEvT_T0_DpT1_,comdat
	.globl	_ZN2at6native12_GLOBAL__N_125multi_tensor_apply_kernelINS1_28TensorListScalarListMetadataIdLi3EEENS1_26TernaryOpScalarListFunctorIdLi3ELi2ELi2EEEJNS0_11LerpFunctorIdEEEEEvT_T0_DpT1_ ; -- Begin function _ZN2at6native12_GLOBAL__N_125multi_tensor_apply_kernelINS1_28TensorListScalarListMetadataIdLi3EEENS1_26TernaryOpScalarListFunctorIdLi3ELi2ELi2EEEJNS0_11LerpFunctorIdEEEEEvT_T0_DpT1_
	.p2align	8
	.type	_ZN2at6native12_GLOBAL__N_125multi_tensor_apply_kernelINS1_28TensorListScalarListMetadataIdLi3EEENS1_26TernaryOpScalarListFunctorIdLi3ELi2ELi2EEEJNS0_11LerpFunctorIdEEEEEvT_T0_DpT1_,@function
_ZN2at6native12_GLOBAL__N_125multi_tensor_apply_kernelINS1_28TensorListScalarListMetadataIdLi3EEENS1_26TernaryOpScalarListFunctorIdLi3ELi2ELi2EEEJNS0_11LerpFunctorIdEEEEEvT_T0_DpT1_: ; @_ZN2at6native12_GLOBAL__N_125multi_tensor_apply_kernelINS1_28TensorListScalarListMetadataIdLi3EEENS1_26TernaryOpScalarListFunctorIdLi3ELi2ELi2EEEJNS0_11LerpFunctorIdEEEEEvT_T0_DpT1_
; %bb.0:
	s_bfe_u32 s2, ttmp6, 0x4000c
	s_and_b32 s3, ttmp6, 15
	s_add_co_i32 s2, s2, 1
	s_getreg_b32 s4, hwreg(HW_REG_IB_STS2, 6, 4)
	s_mul_i32 s2, ttmp9, s2
	s_mov_b32 s13, 0
	s_add_co_i32 s3, s3, s2
	s_cmp_eq_u32 s4, 0
	s_cselect_b32 s12, ttmp9, s3
	s_load_u8 s14, s[0:1], s12 offset:0x780
	s_add_nc_u64 s[2:3], s[0:1], s[12:13]
	s_mul_u64 s[4:5], s[12:13], 3
	s_delay_alu instid0(SALU_CYCLE_1)
	s_add_nc_u64 s[6:7], s[2:3], s[4:5]
	s_load_b32 s20, s[6:7], 0x8c0
	s_wait_kmcnt 0x0
	s_clause 0x4
	s_load_b64 s[2:3], s[0:1], s14 offset:0x180 scale_offset
	s_load_b64 s[8:9], s[0:1], s14 offset:0x300 scale_offset
	;; [unrolled: 1-line block ×5, first 2 shown]
	s_ashr_i32 s21, s20, 31
	s_delay_alu instid0(SALU_CYCLE_1)
	s_lshl_b64 s[6:7], s[20:21], 19
	s_wait_kmcnt 0x0
	s_add_nc_u64 s[14:15], s[2:3], s[6:7]
	s_add_nc_u64 s[16:17], s[8:9], s[6:7]
	;; [unrolled: 1-line block ×3, first 2 shown]
	s_or_b32 s12, s16, s14
	s_and_b64 s[24:25], s[18:19], 31
	s_and_b32 s12, s12, 31
	s_delay_alu instid0(SALU_CYCLE_1) | instskip(SKIP_4) | instid1(SALU_CYCLE_1)
	s_cmp_lg_u32 s12, 0
	s_cselect_b32 s26, -1, 0
	s_and_b32 s12, s22, 3
	s_lshl_b64 s[20:21], s[20:21], 16
	s_or_b64 s[12:13], s[24:25], s[12:13]
	s_cmp_lg_u64 s[12:13], 0
	s_cselect_b32 s12, -1, 0
	s_delay_alu instid0(SALU_CYCLE_1)
	s_or_b32 s24, s26, s12
	s_sub_nc_u64 s[12:13], s[22:23], s[20:21]
	s_and_not1_b32 vcc_lo, exec_lo, s24
	s_mov_b32 s20, -1
	s_cbranch_vccz .LBB24_21
; %bb.1:
	v_min_i64 v[22:23], 0x10000, s[12:13]
	v_dual_mov_b32 v25, 0 :: v_dual_lshlrev_b32 v24, 2, v0
	s_mov_b32 s24, exec_lo
	s_delay_alu instid0(VALU_DEP_1)
	v_cmpx_lt_i64_e64 v[24:25], v[22:23]
	s_cbranch_execz .LBB24_20
; %bb.2:
	v_add_f64_e64 v[26:27], -s[4:5], 1.0
	v_cmp_nlt_f64_e64 s25, |s[4:5]|, 0.5
	s_load_b32 s20, s[0:1], 0xdd4
	v_dual_mov_b32 v1, v25 :: v_dual_lshlrev_b32 v24, 5, v0
	s_mov_b32 s21, 0
	s_delay_alu instid0(SALU_CYCLE_1) | instskip(NEXT) | instid1(VALU_DEP_1)
	s_mov_b32 s23, s21
	v_mov_b64_e32 v[28:29], v[0:1]
	s_mov_b32 s26, s21
	s_wait_kmcnt 0x0
	s_and_b32 s20, s20, 0xffff
	s_delay_alu instid0(SALU_CYCLE_1)
	s_lshl_b32 s22, s20, 5
	s_branch .LBB24_4
.LBB24_3:                               ;   in Loop: Header=BB24_4 Depth=1
	v_add_nc_u64_e32 v[28:29], s[20:21], v[28:29]
	s_add_nc_u64 s[18:19], s[18:19], s[22:23]
	s_add_nc_u64 s[14:15], s[14:15], s[22:23]
	s_delay_alu instid0(VALU_DEP_1) | instskip(NEXT) | instid1(VALU_DEP_1)
	v_lshlrev_b64_e32 v[6:7], 2, v[28:29]
	v_cmp_ge_i64_e32 vcc_lo, v[6:7], v[22:23]
	v_add_nc_u64_e32 v[6:7], s[16:17], v[24:25]
	s_add_nc_u64 s[16:17], s[16:17], s[22:23]
	s_clause 0x1
	global_store_b128 v[6:7], v[2:5], off
	global_store_b128 v[6:7], v[14:17], off offset:16
	s_or_b32 s26, vcc_lo, s26
	s_wait_xcnt 0x0
	s_and_not1_b32 exec_lo, exec_lo, s26
	s_cbranch_execz .LBB24_20
.LBB24_4:                               ; =>This Inner Loop Header: Depth=1
	v_add_nc_u64_e32 v[2:3], s[14:15], v[24:25]
	v_add_nc_u64_e32 v[4:5], s[18:19], v[24:25]
	s_and_b32 vcc_lo, exec_lo, s25
	s_mov_b32 s27, -1
	global_load_b128 v[18:21], v[2:3], off
	s_clause 0x1
	global_load_b128 v[14:17], v[4:5], off
	global_load_b128 v[6:9], v[4:5], off offset:16
	global_load_b128 v[10:13], v[2:3], off offset:16
                                        ; implicit-def: $vgpr2_vgpr3
	s_wait_loadcnt 0x2
	s_wait_xcnt 0x1
	v_add_f64_e64 v[4:5], v[18:19], -v[14:15]
	s_cbranch_vccz .LBB24_8
; %bb.5:                                ;   in Loop: Header=BB24_4 Depth=1
	s_wait_xcnt 0x0
	s_delay_alu instid0(VALU_DEP_1)
	v_fma_f64 v[2:3], -v[26:27], v[4:5], v[18:19]
	s_cbranch_execz .LBB24_9
.LBB24_6:                               ;   in Loop: Header=BB24_4 Depth=1
	v_add_f64_e64 v[14:15], v[20:21], -v[16:17]
	s_and_not1_b32 vcc_lo, exec_lo, s25
	s_mov_b32 s27, -1
	s_cbranch_vccnz .LBB24_10
.LBB24_7:                               ;   in Loop: Header=BB24_4 Depth=1
	s_delay_alu instid0(VALU_DEP_1)
	v_fma_f64 v[4:5], -v[26:27], v[14:15], v[20:21]
	s_cbranch_execnz .LBB24_12
	s_branch .LBB24_11
.LBB24_8:                               ;   in Loop: Header=BB24_4 Depth=1
	s_and_not1_b32 vcc_lo, exec_lo, s27
	s_cbranch_vccnz .LBB24_6
.LBB24_9:                               ;   in Loop: Header=BB24_4 Depth=1
	s_delay_alu instid0(VALU_DEP_1) | instskip(SKIP_1) | instid1(VALU_DEP_1)
	v_fmac_f64_e32 v[14:15], s[4:5], v[4:5]
	s_wait_xcnt 0x0
	v_mov_b64_e32 v[2:3], v[14:15]
	v_add_f64_e64 v[14:15], v[20:21], -v[16:17]
	s_and_not1_b32 vcc_lo, exec_lo, s25
	s_mov_b32 s27, -1
	s_cbranch_vccz .LBB24_7
.LBB24_10:                              ;   in Loop: Header=BB24_4 Depth=1
	s_and_not1_b32 vcc_lo, exec_lo, s27
	s_cbranch_vccnz .LBB24_12
.LBB24_11:                              ;   in Loop: Header=BB24_4 Depth=1
	s_delay_alu instid0(VALU_DEP_1) | instskip(NEXT) | instid1(VALU_DEP_1)
	v_fmac_f64_e32 v[16:17], s[4:5], v[14:15]
	v_mov_b64_e32 v[4:5], v[16:17]
.LBB24_12:                              ;   in Loop: Header=BB24_4 Depth=1
	s_wait_loadcnt 0x0
	v_add_f64_e64 v[16:17], v[10:11], -v[6:7]
	s_and_not1_b32 vcc_lo, exec_lo, s25
	s_mov_b32 s27, -1
                                        ; implicit-def: $vgpr14_vgpr15
	s_cbranch_vccnz .LBB24_16
; %bb.13:                               ;   in Loop: Header=BB24_4 Depth=1
	s_delay_alu instid0(VALU_DEP_1)
	v_fma_f64 v[14:15], -v[26:27], v[16:17], v[10:11]
	s_cbranch_execz .LBB24_17
.LBB24_14:                              ;   in Loop: Header=BB24_4 Depth=1
	v_add_f64_e64 v[6:7], v[12:13], -v[8:9]
	s_and_not1_b32 vcc_lo, exec_lo, s25
	s_mov_b32 s27, -1
	s_cbranch_vccnz .LBB24_18
.LBB24_15:                              ;   in Loop: Header=BB24_4 Depth=1
	s_delay_alu instid0(VALU_DEP_1)
	v_fma_f64 v[16:17], -v[26:27], v[6:7], v[12:13]
	s_cbranch_execnz .LBB24_3
	s_branch .LBB24_19
.LBB24_16:                              ;   in Loop: Header=BB24_4 Depth=1
	s_and_not1_b32 vcc_lo, exec_lo, s27
	s_cbranch_vccnz .LBB24_14
.LBB24_17:                              ;   in Loop: Header=BB24_4 Depth=1
	s_delay_alu instid0(VALU_DEP_1) | instskip(NEXT) | instid1(VALU_DEP_1)
	v_fmac_f64_e32 v[6:7], s[4:5], v[16:17]
	v_mov_b64_e32 v[14:15], v[6:7]
	v_add_f64_e64 v[6:7], v[12:13], -v[8:9]
	s_and_not1_b32 vcc_lo, exec_lo, s25
	s_mov_b32 s27, -1
	s_cbranch_vccz .LBB24_15
.LBB24_18:                              ;   in Loop: Header=BB24_4 Depth=1
	s_and_not1_b32 vcc_lo, exec_lo, s27
	s_cbranch_vccnz .LBB24_3
.LBB24_19:                              ;   in Loop: Header=BB24_4 Depth=1
	s_delay_alu instid0(VALU_DEP_1) | instskip(NEXT) | instid1(VALU_DEP_1)
	v_fmac_f64_e32 v[8:9], s[4:5], v[6:7]
	v_mov_b64_e32 v[16:17], v[8:9]
	s_branch .LBB24_3
.LBB24_20:
	s_or_b32 exec_lo, exec_lo, s24
	s_mov_b32 s20, 0
.LBB24_21:
	s_delay_alu instid0(SALU_CYCLE_1)
	s_and_not1_b32 vcc_lo, exec_lo, s20
	s_cbranch_vccnz .LBB24_57
; %bb.22:
	v_cmp_lt_i64_e64 s14, s[12:13], 1
	s_and_b32 vcc_lo, exec_lo, s14
	s_cbranch_vccnz .LBB24_57
; %bb.23:
	s_load_b32 s0, s[0:1], 0xdd4
	v_min_i64 v[2:3], 0x10000, s[12:13]
	v_min_u64 v[4:5], 0x10000, s[12:13]
	v_cmp_nlt_f64_e64 s14, |s[4:5]|, 0.5
	v_add_f64_e64 v[6:7], -s[4:5], 1.0
	v_dual_mov_b32 v1, 0 :: v_dual_lshlrev_b32 v14, 3, v0
	s_wait_xcnt 0x0
	s_mov_b32 s1, 0
	s_delay_alu instid0(SALU_CYCLE_1) | instskip(NEXT) | instid1(VALU_DEP_1)
	s_mov_b32 s19, s1
	v_dual_mov_b32 v15, v1 :: v_dual_mov_b32 v37, v1
	s_mov_b32 s13, s1
	s_mov_b32 s17, s1
	s_delay_alu instid0(VALU_DEP_1) | instskip(SKIP_3) | instid1(SALU_CYCLE_1)
	v_add_nc_u64_e32 v[8:9], s[10:11], v[14:15]
	v_add_nc_u64_e32 v[10:11], s[2:3], v[14:15]
	s_wait_kmcnt 0x0
	s_and_b32 s0, s0, 0xffff
	v_add_nc_u64_e32 v[12:13], s[0:1], v[0:1]
	v_mad_nc_u64_u32 v[30:31], s0, 24, v[14:15]
	s_lshl_b32 s18, s0, 4
	s_mul_i32 s16, s0, 3
	v_add_nc_u64_e32 v[24:25], s[18:19], v[14:15]
	s_lshl_b32 s12, s0, 1
	v_add_nc_u64_e32 v[14:15], s[8:9], v[14:15]
	v_lshlrev_b32_e32 v36, 3, v12
	v_add_nc_u64_e32 v[16:17], s[16:17], v[0:1]
	v_add_nc_u64_e32 v[18:19], s[12:13], v[0:1]
	s_mov_b64 s[12:13], 0
	v_add_nc_u64_e32 v[20:21], s[10:11], v[24:25]
	v_add_nc_u64_e32 v[22:23], s[2:3], v[24:25]
	;; [unrolled: 1-line block ×9, first 2 shown]
	s_lshl_b32 s8, s0, 2
	s_mov_b32 s9, s1
	s_lshl_b32 s10, s0, 5
	s_mov_b32 s11, s1
	s_branch .LBB24_25
.LBB24_24:                              ;   in Loop: Header=BB24_25 Depth=1
	s_wait_xcnt 0x0
	s_or_b32 exec_lo, exec_lo, s0
	s_add_nc_u64 s[12:13], s[12:13], s[8:9]
	v_add_nc_u64_e32 v[8:9], s[10:11], v[8:9]
	v_cmp_ge_i64_e32 vcc_lo, s[12:13], v[2:3]
	v_add_nc_u64_e32 v[10:11], s[10:11], v[10:11]
	v_add_nc_u64_e32 v[14:15], s[10:11], v[14:15]
	;; [unrolled: 1-line block ×11, first 2 shown]
	s_cbranch_vccnz .LBB24_57
.LBB24_25:                              ; =>This Inner Loop Header: Depth=1
	v_add_nc_u64_e32 v[38:39], s[12:13], v[0:1]
	v_mov_b64_e32 v[42:43], 0
	v_mov_b64_e32 v[54:55], 0
	;; [unrolled: 1-line block ×3, first 2 shown]
	s_delay_alu instid0(VALU_DEP_4)
	v_cmp_lt_u64_e64 s0, v[38:39], v[4:5]
	s_and_saveexec_b32 s1, s0
	s_cbranch_execz .LBB24_27
; %bb.26:                               ;   in Loop: Header=BB24_25 Depth=1
	v_add_nc_u64_e32 v[38:39], s[6:7], v[8:9]
	v_add_nc_u64_e32 v[40:41], s[6:7], v[10:11]
	global_load_b64 v[50:51], v[38:39], off
	global_load_b64 v[54:55], v[40:41], off
.LBB24_27:                              ;   in Loop: Header=BB24_25 Depth=1
	s_wait_xcnt 0x0
	s_or_b32 exec_lo, exec_lo, s1
	v_add_nc_u64_e32 v[38:39], s[12:13], v[12:13]
	v_mov_b64_e32 v[46:47], 0
	s_delay_alu instid0(VALU_DEP_2)
	v_cmp_lt_u64_e64 s1, v[38:39], v[4:5]
	s_and_saveexec_b32 s2, s1
	s_cbranch_execz .LBB24_29
; %bb.28:                               ;   in Loop: Header=BB24_25 Depth=1
	v_add_nc_u64_e32 v[38:39], s[6:7], v[32:33]
	v_add_nc_u64_e32 v[40:41], s[6:7], v[34:35]
	global_load_b64 v[46:47], v[38:39], off
	global_load_b64 v[42:43], v[40:41], off
.LBB24_29:                              ;   in Loop: Header=BB24_25 Depth=1
	s_wait_xcnt 0x0
	s_or_b32 exec_lo, exec_lo, s2
	v_add_nc_u64_e32 v[40:41], s[12:13], v[18:19]
	v_mov_b64_e32 v[38:39], 0
	v_mov_b64_e32 v[52:53], 0
	;; [unrolled: 1-line block ×3, first 2 shown]
	s_delay_alu instid0(VALU_DEP_4)
	v_cmp_lt_u64_e64 s2, v[40:41], v[4:5]
	s_and_saveexec_b32 s3, s2
	s_cbranch_execz .LBB24_31
; %bb.30:                               ;   in Loop: Header=BB24_25 Depth=1
	v_add_nc_u64_e32 v[40:41], s[6:7], v[20:21]
	v_add_nc_u64_e32 v[48:49], s[6:7], v[22:23]
	global_load_b64 v[44:45], v[40:41], off
	global_load_b64 v[52:53], v[48:49], off
.LBB24_31:                              ;   in Loop: Header=BB24_25 Depth=1
	s_wait_xcnt 0x0
	s_or_b32 exec_lo, exec_lo, s3
	v_add_nc_u64_e32 v[40:41], s[12:13], v[16:17]
	s_delay_alu instid0(VALU_DEP_1)
	v_cmp_lt_u64_e64 s3, v[40:41], v[4:5]
	v_mov_b64_e32 v[40:41], 0
	s_and_saveexec_b32 s15, s3
	s_cbranch_execz .LBB24_33
; %bb.32:                               ;   in Loop: Header=BB24_25 Depth=1
	v_add_nc_u64_e32 v[48:49], s[6:7], v[26:27]
	v_add_nc_u64_e32 v[56:57], s[6:7], v[28:29]
	global_load_b64 v[40:41], v[48:49], off
	global_load_b64 v[38:39], v[56:57], off
.LBB24_33:                              ;   in Loop: Header=BB24_25 Depth=1
	s_wait_xcnt 0x0
	s_or_b32 exec_lo, exec_lo, s15
	s_wait_loadcnt 0x0
	v_add_f64_e64 v[56:57], v[54:55], -v[50:51]
	s_and_b32 vcc_lo, exec_lo, s14
	s_mov_b32 s15, -1
                                        ; implicit-def: $vgpr48_vgpr49
	s_cbranch_vccz .LBB24_35
; %bb.34:                               ;   in Loop: Header=BB24_25 Depth=1
	s_delay_alu instid0(VALU_DEP_1)
	v_fma_f64 v[48:49], -v[6:7], v[56:57], v[54:55]
	s_cbranch_execnz .LBB24_37
	s_branch .LBB24_36
.LBB24_35:                              ;   in Loop: Header=BB24_25 Depth=1
	s_and_not1_b32 vcc_lo, exec_lo, s15
	s_cbranch_vccnz .LBB24_37
.LBB24_36:                              ;   in Loop: Header=BB24_25 Depth=1
	s_delay_alu instid0(VALU_DEP_1) | instskip(NEXT) | instid1(VALU_DEP_1)
	v_fmac_f64_e32 v[50:51], s[4:5], v[56:57]
	v_mov_b64_e32 v[48:49], v[50:51]
.LBB24_37:                              ;   in Loop: Header=BB24_25 Depth=1
	v_add_f64_e64 v[54:55], v[42:43], -v[46:47]
	s_and_not1_b32 vcc_lo, exec_lo, s14
	s_mov_b32 s15, -1
                                        ; implicit-def: $vgpr50_vgpr51
	s_cbranch_vccnz .LBB24_39
; %bb.38:                               ;   in Loop: Header=BB24_25 Depth=1
	s_delay_alu instid0(VALU_DEP_1)
	v_fma_f64 v[50:51], -v[6:7], v[54:55], v[42:43]
	s_cbranch_execnz .LBB24_41
	s_branch .LBB24_40
.LBB24_39:                              ;   in Loop: Header=BB24_25 Depth=1
	s_and_not1_b32 vcc_lo, exec_lo, s15
	s_cbranch_vccnz .LBB24_41
.LBB24_40:                              ;   in Loop: Header=BB24_25 Depth=1
	s_delay_alu instid0(VALU_DEP_1) | instskip(NEXT) | instid1(VALU_DEP_1)
	v_fmac_f64_e32 v[46:47], s[4:5], v[54:55]
	v_mov_b64_e32 v[50:51], v[46:47]
.LBB24_41:                              ;   in Loop: Header=BB24_25 Depth=1
	v_add_f64_e64 v[46:47], v[52:53], -v[44:45]
	s_and_not1_b32 vcc_lo, exec_lo, s14
	s_mov_b32 s15, -1
                                        ; implicit-def: $vgpr42_vgpr43
	s_cbranch_vccnz .LBB24_43
; %bb.42:                               ;   in Loop: Header=BB24_25 Depth=1
	s_delay_alu instid0(VALU_DEP_1)
	v_fma_f64 v[42:43], -v[6:7], v[46:47], v[52:53]
	s_cbranch_execnz .LBB24_45
	s_branch .LBB24_44
.LBB24_43:                              ;   in Loop: Header=BB24_25 Depth=1
	s_and_not1_b32 vcc_lo, exec_lo, s15
	s_cbranch_vccnz .LBB24_45
.LBB24_44:                              ;   in Loop: Header=BB24_25 Depth=1
	s_delay_alu instid0(VALU_DEP_1) | instskip(NEXT) | instid1(VALU_DEP_1)
	v_fmac_f64_e32 v[44:45], s[4:5], v[46:47]
	v_mov_b64_e32 v[42:43], v[44:45]
.LBB24_45:                              ;   in Loop: Header=BB24_25 Depth=1
	v_add_f64_e64 v[46:47], v[38:39], -v[40:41]
	s_and_not1_b32 vcc_lo, exec_lo, s14
	s_mov_b32 s15, -1
                                        ; implicit-def: $vgpr44_vgpr45
	s_cbranch_vccnz .LBB24_51
; %bb.46:                               ;   in Loop: Header=BB24_25 Depth=1
	s_delay_alu instid0(VALU_DEP_1)
	v_fma_f64 v[44:45], -v[6:7], v[46:47], v[38:39]
	s_cbranch_execz .LBB24_52
.LBB24_47:                              ;   in Loop: Header=BB24_25 Depth=1
	s_and_saveexec_b32 s15, s0
	s_delay_alu instid0(SALU_CYCLE_1)
	s_xor_b32 s0, exec_lo, s15
	s_cbranch_execz .LBB24_53
.LBB24_48:                              ;   in Loop: Header=BB24_25 Depth=1
	v_add_nc_u64_e32 v[38:39], s[6:7], v[14:15]
	global_store_b64 v[38:39], v[48:49], off
	s_wait_xcnt 0x0
	s_or_b32 exec_lo, exec_lo, s0
	s_and_saveexec_b32 s0, s1
	s_cbranch_execnz .LBB24_54
.LBB24_49:                              ;   in Loop: Header=BB24_25 Depth=1
	s_or_b32 exec_lo, exec_lo, s0
	s_and_saveexec_b32 s0, s2
	s_cbranch_execz .LBB24_55
.LBB24_50:                              ;   in Loop: Header=BB24_25 Depth=1
	v_add_nc_u64_e32 v[38:39], s[6:7], v[24:25]
	global_store_b64 v[38:39], v[42:43], off
	s_wait_xcnt 0x0
	s_or_b32 exec_lo, exec_lo, s0
	s_and_saveexec_b32 s0, s3
	s_cbranch_execz .LBB24_24
	s_branch .LBB24_56
.LBB24_51:                              ;   in Loop: Header=BB24_25 Depth=1
	s_and_not1_b32 vcc_lo, exec_lo, s15
	s_cbranch_vccnz .LBB24_47
.LBB24_52:                              ;   in Loop: Header=BB24_25 Depth=1
	s_delay_alu instid0(VALU_DEP_1) | instskip(NEXT) | instid1(VALU_DEP_1)
	v_fmac_f64_e32 v[40:41], s[4:5], v[46:47]
	v_mov_b64_e32 v[44:45], v[40:41]
	s_and_saveexec_b32 s15, s0
	s_delay_alu instid0(SALU_CYCLE_1)
	s_xor_b32 s0, exec_lo, s15
	s_cbranch_execnz .LBB24_48
.LBB24_53:                              ;   in Loop: Header=BB24_25 Depth=1
	s_or_b32 exec_lo, exec_lo, s0
	s_and_saveexec_b32 s0, s1
	s_cbranch_execz .LBB24_49
.LBB24_54:                              ;   in Loop: Header=BB24_25 Depth=1
	v_add_nc_u64_e32 v[38:39], s[6:7], v[36:37]
	global_store_b64 v[38:39], v[50:51], off
	s_wait_xcnt 0x0
	s_or_b32 exec_lo, exec_lo, s0
	s_and_saveexec_b32 s0, s2
	s_cbranch_execnz .LBB24_50
.LBB24_55:                              ;   in Loop: Header=BB24_25 Depth=1
	s_or_b32 exec_lo, exec_lo, s0
	s_and_saveexec_b32 s0, s3
	s_cbranch_execz .LBB24_24
.LBB24_56:                              ;   in Loop: Header=BB24_25 Depth=1
	v_add_nc_u64_e32 v[38:39], s[6:7], v[30:31]
	global_store_b64 v[38:39], v[44:45], off
	s_branch .LBB24_24
.LBB24_57:
	s_endpgm
	.section	.rodata,"a",@progbits
	.p2align	6, 0x0
	.amdhsa_kernel _ZN2at6native12_GLOBAL__N_125multi_tensor_apply_kernelINS1_28TensorListScalarListMetadataIdLi3EEENS1_26TernaryOpScalarListFunctorIdLi3ELi2ELi2EEEJNS0_11LerpFunctorIdEEEEEvT_T0_DpT1_
		.amdhsa_group_segment_fixed_size 0
		.amdhsa_private_segment_fixed_size 0
		.amdhsa_kernarg_size 3784
		.amdhsa_user_sgpr_count 2
		.amdhsa_user_sgpr_dispatch_ptr 0
		.amdhsa_user_sgpr_queue_ptr 0
		.amdhsa_user_sgpr_kernarg_segment_ptr 1
		.amdhsa_user_sgpr_dispatch_id 0
		.amdhsa_user_sgpr_kernarg_preload_length 0
		.amdhsa_user_sgpr_kernarg_preload_offset 0
		.amdhsa_user_sgpr_private_segment_size 0
		.amdhsa_wavefront_size32 1
		.amdhsa_uses_dynamic_stack 0
		.amdhsa_enable_private_segment 0
		.amdhsa_system_sgpr_workgroup_id_x 1
		.amdhsa_system_sgpr_workgroup_id_y 0
		.amdhsa_system_sgpr_workgroup_id_z 0
		.amdhsa_system_sgpr_workgroup_info 0
		.amdhsa_system_vgpr_workitem_id 0
		.amdhsa_next_free_vgpr 58
		.amdhsa_next_free_sgpr 28
		.amdhsa_named_barrier_count 0
		.amdhsa_reserve_vcc 1
		.amdhsa_float_round_mode_32 0
		.amdhsa_float_round_mode_16_64 0
		.amdhsa_float_denorm_mode_32 3
		.amdhsa_float_denorm_mode_16_64 3
		.amdhsa_fp16_overflow 0
		.amdhsa_memory_ordered 1
		.amdhsa_forward_progress 1
		.amdhsa_inst_pref_size 15
		.amdhsa_round_robin_scheduling 0
		.amdhsa_exception_fp_ieee_invalid_op 0
		.amdhsa_exception_fp_denorm_src 0
		.amdhsa_exception_fp_ieee_div_zero 0
		.amdhsa_exception_fp_ieee_overflow 0
		.amdhsa_exception_fp_ieee_underflow 0
		.amdhsa_exception_fp_ieee_inexact 0
		.amdhsa_exception_int_div_zero 0
	.end_amdhsa_kernel
	.section	.text._ZN2at6native12_GLOBAL__N_125multi_tensor_apply_kernelINS1_28TensorListScalarListMetadataIdLi3EEENS1_26TernaryOpScalarListFunctorIdLi3ELi2ELi2EEEJNS0_11LerpFunctorIdEEEEEvT_T0_DpT1_,"axG",@progbits,_ZN2at6native12_GLOBAL__N_125multi_tensor_apply_kernelINS1_28TensorListScalarListMetadataIdLi3EEENS1_26TernaryOpScalarListFunctorIdLi3ELi2ELi2EEEJNS0_11LerpFunctorIdEEEEEvT_T0_DpT1_,comdat
.Lfunc_end24:
	.size	_ZN2at6native12_GLOBAL__N_125multi_tensor_apply_kernelINS1_28TensorListScalarListMetadataIdLi3EEENS1_26TernaryOpScalarListFunctorIdLi3ELi2ELi2EEEJNS0_11LerpFunctorIdEEEEEvT_T0_DpT1_, .Lfunc_end24-_ZN2at6native12_GLOBAL__N_125multi_tensor_apply_kernelINS1_28TensorListScalarListMetadataIdLi3EEENS1_26TernaryOpScalarListFunctorIdLi3ELi2ELi2EEEJNS0_11LerpFunctorIdEEEEEvT_T0_DpT1_
                                        ; -- End function
	.set _ZN2at6native12_GLOBAL__N_125multi_tensor_apply_kernelINS1_28TensorListScalarListMetadataIdLi3EEENS1_26TernaryOpScalarListFunctorIdLi3ELi2ELi2EEEJNS0_11LerpFunctorIdEEEEEvT_T0_DpT1_.num_vgpr, 58
	.set _ZN2at6native12_GLOBAL__N_125multi_tensor_apply_kernelINS1_28TensorListScalarListMetadataIdLi3EEENS1_26TernaryOpScalarListFunctorIdLi3ELi2ELi2EEEJNS0_11LerpFunctorIdEEEEEvT_T0_DpT1_.num_agpr, 0
	.set _ZN2at6native12_GLOBAL__N_125multi_tensor_apply_kernelINS1_28TensorListScalarListMetadataIdLi3EEENS1_26TernaryOpScalarListFunctorIdLi3ELi2ELi2EEEJNS0_11LerpFunctorIdEEEEEvT_T0_DpT1_.numbered_sgpr, 28
	.set _ZN2at6native12_GLOBAL__N_125multi_tensor_apply_kernelINS1_28TensorListScalarListMetadataIdLi3EEENS1_26TernaryOpScalarListFunctorIdLi3ELi2ELi2EEEJNS0_11LerpFunctorIdEEEEEvT_T0_DpT1_.num_named_barrier, 0
	.set _ZN2at6native12_GLOBAL__N_125multi_tensor_apply_kernelINS1_28TensorListScalarListMetadataIdLi3EEENS1_26TernaryOpScalarListFunctorIdLi3ELi2ELi2EEEJNS0_11LerpFunctorIdEEEEEvT_T0_DpT1_.private_seg_size, 0
	.set _ZN2at6native12_GLOBAL__N_125multi_tensor_apply_kernelINS1_28TensorListScalarListMetadataIdLi3EEENS1_26TernaryOpScalarListFunctorIdLi3ELi2ELi2EEEJNS0_11LerpFunctorIdEEEEEvT_T0_DpT1_.uses_vcc, 1
	.set _ZN2at6native12_GLOBAL__N_125multi_tensor_apply_kernelINS1_28TensorListScalarListMetadataIdLi3EEENS1_26TernaryOpScalarListFunctorIdLi3ELi2ELi2EEEJNS0_11LerpFunctorIdEEEEEvT_T0_DpT1_.uses_flat_scratch, 0
	.set _ZN2at6native12_GLOBAL__N_125multi_tensor_apply_kernelINS1_28TensorListScalarListMetadataIdLi3EEENS1_26TernaryOpScalarListFunctorIdLi3ELi2ELi2EEEJNS0_11LerpFunctorIdEEEEEvT_T0_DpT1_.has_dyn_sized_stack, 0
	.set _ZN2at6native12_GLOBAL__N_125multi_tensor_apply_kernelINS1_28TensorListScalarListMetadataIdLi3EEENS1_26TernaryOpScalarListFunctorIdLi3ELi2ELi2EEEJNS0_11LerpFunctorIdEEEEEvT_T0_DpT1_.has_recursion, 0
	.set _ZN2at6native12_GLOBAL__N_125multi_tensor_apply_kernelINS1_28TensorListScalarListMetadataIdLi3EEENS1_26TernaryOpScalarListFunctorIdLi3ELi2ELi2EEEJNS0_11LerpFunctorIdEEEEEvT_T0_DpT1_.has_indirect_call, 0
	.section	.AMDGPU.csdata,"",@progbits
; Kernel info:
; codeLenInByte = 1808
; TotalNumSgprs: 30
; NumVgprs: 58
; ScratchSize: 0
; MemoryBound: 1
; FloatMode: 240
; IeeeMode: 1
; LDSByteSize: 0 bytes/workgroup (compile time only)
; SGPRBlocks: 0
; VGPRBlocks: 3
; NumSGPRsForWavesPerEU: 30
; NumVGPRsForWavesPerEU: 58
; NamedBarCnt: 0
; Occupancy: 16
; WaveLimiterHint : 1
; COMPUTE_PGM_RSRC2:SCRATCH_EN: 0
; COMPUTE_PGM_RSRC2:USER_SGPR: 2
; COMPUTE_PGM_RSRC2:TRAP_HANDLER: 0
; COMPUTE_PGM_RSRC2:TGID_X_EN: 1
; COMPUTE_PGM_RSRC2:TGID_Y_EN: 0
; COMPUTE_PGM_RSRC2:TGID_Z_EN: 0
; COMPUTE_PGM_RSRC2:TIDIG_COMP_CNT: 0
	.section	.text._ZN2at6native12_GLOBAL__N_125multi_tensor_apply_kernelINS1_28TensorListScalarListMetadataIfLi3EEENS1_26TernaryOpScalarListFunctorIfLi3ELi2ELi2EEEJNS0_11LerpFunctorIfEEEEEvT_T0_DpT1_,"axG",@progbits,_ZN2at6native12_GLOBAL__N_125multi_tensor_apply_kernelINS1_28TensorListScalarListMetadataIfLi3EEENS1_26TernaryOpScalarListFunctorIfLi3ELi2ELi2EEEJNS0_11LerpFunctorIfEEEEEvT_T0_DpT1_,comdat
	.globl	_ZN2at6native12_GLOBAL__N_125multi_tensor_apply_kernelINS1_28TensorListScalarListMetadataIfLi3EEENS1_26TernaryOpScalarListFunctorIfLi3ELi2ELi2EEEJNS0_11LerpFunctorIfEEEEEvT_T0_DpT1_ ; -- Begin function _ZN2at6native12_GLOBAL__N_125multi_tensor_apply_kernelINS1_28TensorListScalarListMetadataIfLi3EEENS1_26TernaryOpScalarListFunctorIfLi3ELi2ELi2EEEJNS0_11LerpFunctorIfEEEEEvT_T0_DpT1_
	.p2align	8
	.type	_ZN2at6native12_GLOBAL__N_125multi_tensor_apply_kernelINS1_28TensorListScalarListMetadataIfLi3EEENS1_26TernaryOpScalarListFunctorIfLi3ELi2ELi2EEEJNS0_11LerpFunctorIfEEEEEvT_T0_DpT1_,@function
_ZN2at6native12_GLOBAL__N_125multi_tensor_apply_kernelINS1_28TensorListScalarListMetadataIfLi3EEENS1_26TernaryOpScalarListFunctorIfLi3ELi2ELi2EEEJNS0_11LerpFunctorIfEEEEEvT_T0_DpT1_: ; @_ZN2at6native12_GLOBAL__N_125multi_tensor_apply_kernelINS1_28TensorListScalarListMetadataIfLi3EEENS1_26TernaryOpScalarListFunctorIfLi3ELi2ELi2EEEJNS0_11LerpFunctorIfEEEEEvT_T0_DpT1_
; %bb.0:
	s_bfe_u32 s2, ttmp6, 0x4000c
	s_and_b32 s3, ttmp6, 15
	s_add_co_i32 s2, s2, 1
	s_getreg_b32 s4, hwreg(HW_REG_IB_STS2, 6, 4)
	s_mul_i32 s2, ttmp9, s2
	s_delay_alu instid0(SALU_CYCLE_1)
	s_add_co_i32 s3, s3, s2
	s_cmp_eq_u32 s4, 0
	s_cselect_b32 s2, ttmp9, s3
	s_mov_b32 s3, 0
	s_load_u8 s20, s[0:1], s2 offset:0x6c0
	s_add_nc_u64 s[4:5], s[0:1], s[2:3]
	s_mul_u64 s[6:7], s[2:3], 3
	s_delay_alu instid0(SALU_CYCLE_1)
	s_add_nc_u64 s[4:5], s[4:5], s[6:7]
	s_load_b32 s14, s[4:5], 0x800
	s_wait_kmcnt 0x0
	s_clause 0x3
	s_load_b64 s[8:9], s[0:1], s20 offset:0x180 scale_offset
	s_load_b64 s[10:11], s[0:1], s20 offset:0x300 scale_offset
	s_load_b64 s[12:13], s[0:1], s20 offset:0x0 scale_offset
	s_load_b64 s[16:17], s[0:1], s20 offset:0x480 scale_offset
	s_lshl_b32 s2, s20, 3
	s_ashr_i32 s15, s14, 31
	s_delay_alu instid0(SALU_CYCLE_1) | instskip(SKIP_3) | instid1(SALU_CYCLE_1)
	s_lshl_b64 s[4:5], s[14:15], 18
	s_wait_kmcnt 0x0
	s_and_b64 s[18:19], s[12:13], 15
	s_add_nc_u64 s[6:7], s[8:9], s[4:5]
	s_or_b32 s6, s10, s6
	s_delay_alu instid0(SALU_CYCLE_1) | instskip(NEXT) | instid1(SALU_CYCLE_1)
	s_and_b32 s6, s6, 15
	s_cmp_lg_u32 s6, 0
	s_add_nc_u64 s[6:7], s[0:1], s[2:3]
	s_cselect_b32 s22, -1, 0
	s_lshl_b32 s2, s20, 2
	s_lshl_b64 s[14:15], s[14:15], 16
	s_sub_nc_u64 s[20:21], 0, s[2:3]
	s_and_b32 s2, s16, 3
	s_add_nc_u64 s[6:7], s[6:7], s[20:21]
	s_or_b64 s[2:3], s[18:19], s[2:3]
	s_load_b32 s6, s[6:7], 0x600
	s_cmp_lg_u64 s[2:3], 0
	s_sub_nc_u64 s[14:15], s[16:17], s[14:15]
	s_cselect_b32 s2, -1, 0
	s_delay_alu instid0(SALU_CYCLE_1) | instskip(NEXT) | instid1(SALU_CYCLE_1)
	s_or_b32 s2, s22, s2
	s_and_not1_b32 vcc_lo, exec_lo, s2
	s_mov_b32 s2, -1
	s_cbranch_vccz .LBB25_5
; %bb.1:
	v_min_i64 v[2:3], 0x10000, s[14:15]
	v_dual_mov_b32 v7, 0 :: v_dual_lshlrev_b32 v6, 2, v0
	s_mov_b32 s3, exec_lo
	s_delay_alu instid0(VALU_DEP_1)
	v_cmpx_lt_i64_e64 v[6:7], v[2:3]
	s_cbranch_execz .LBB25_4
; %bb.2:
	s_load_b32 s2, s[0:1], 0xd14
	s_wait_kmcnt 0x0
	s_sub_f32 s22, 1.0, s6
	v_dual_mov_b32 v1, v7 :: v_dual_lshlrev_b32 v6, 4, v0
	s_and_b32 s16, s6, 0x7fffffff
	s_mov_b32 s7, s6
	s_mov_b32 s23, s22
	s_cmp_lt_f32 s16, 0.5
	v_mov_b64_e32 v[4:5], s[6:7]
	v_add_nc_u64_e32 v[6:7], s[4:5], v[6:7]
	v_mov_b64_e32 v[8:9], v[0:1]
	v_mov_b64_e32 v[10:11], s[22:23]
	s_mov_b32 s17, 0
	s_cselect_b32 vcc_lo, -1, 0
	s_add_nc_u64 s[18:19], s[12:13], 8
	s_add_nc_u64 s[20:21], s[8:9], 8
	s_mov_b32 s23, s17
	s_mov_b32 s7, s17
	s_and_b32 s16, s2, 0xffff
	s_delay_alu instid0(SALU_CYCLE_1)
	s_lshl_b32 s22, s16, 4
.LBB25_3:                               ; =>This Inner Loop Header: Depth=1
	v_add_nc_u64_e32 v[20:21], s[18:19], v[6:7]
	v_add_nc_u64_e32 v[22:23], s[20:21], v[6:7]
	;; [unrolled: 1-line block ×3, first 2 shown]
	global_load_b128 v[12:15], v[20:21], off offset:-8
	global_load_b128 v[16:19], v[22:23], off offset:-8
	s_wait_xcnt 0x1
	v_add_nc_u64_e32 v[20:21], s[10:11], v[6:7]
	s_wait_xcnt 0x0
	v_lshlrev_b64_e32 v[22:23], 2, v[8:9]
	v_add_nc_u64_e32 v[6:7], s[22:23], v[6:7]
	s_delay_alu instid0(VALU_DEP_2) | instskip(SKIP_4) | instid1(VALU_DEP_2)
	v_cmp_ge_i64_e64 s2, v[22:23], v[2:3]
	s_or_b32 s7, s2, s7
	s_wait_loadcnt 0x0
	v_pk_add_f32 v[24:25], v[16:17], v[12:13] neg_lo:[0,1] neg_hi:[0,1]
	v_pk_add_f32 v[26:27], v[18:19], v[14:15] neg_lo:[0,1] neg_hi:[0,1]
	v_pk_fma_f32 v[12:13], v[4:5], v[24:25], v[12:13]
	v_pk_fma_f32 v[16:17], v[10:11], v[24:25], v[16:17] neg_lo:[1,0,0] neg_hi:[1,0,0]
	s_delay_alu instid0(VALU_DEP_3) | instskip(SKIP_1) | instid1(VALU_DEP_3)
	v_pk_fma_f32 v[14:15], v[4:5], v[26:27], v[14:15]
	v_pk_fma_f32 v[18:19], v[10:11], v[26:27], v[18:19] neg_lo:[1,0,0] neg_hi:[1,0,0]
	v_dual_cndmask_b32 v13, v17, v13 :: v_dual_cndmask_b32 v12, v16, v12
	s_delay_alu instid0(VALU_DEP_2)
	v_dual_cndmask_b32 v15, v19, v15 :: v_dual_cndmask_b32 v14, v18, v14
	global_store_b128 v[20:21], v[12:15], off
	s_wait_xcnt 0x0
	s_and_not1_b32 exec_lo, exec_lo, s7
	s_cbranch_execnz .LBB25_3
.LBB25_4:
	s_or_b32 exec_lo, exec_lo, s3
	s_mov_b32 s2, 0
.LBB25_5:
	s_delay_alu instid0(SALU_CYCLE_1)
	s_and_not1_b32 vcc_lo, exec_lo, s2
	s_cbranch_vccnz .LBB25_25
; %bb.6:
	v_cmp_lt_i64_e64 s2, s[14:15], 1
	s_and_b32 vcc_lo, exec_lo, s2
	s_cbranch_vccnz .LBB25_25
; %bb.7:
	s_load_b32 s0, s[0:1], 0xd14
	v_min_i64 v[2:3], 0x10000, s[14:15]
	v_min_u64 v[4:5], 0x10000, s[14:15]
	v_dual_mov_b32 v1, 0 :: v_dual_lshlrev_b32 v16, 2, v0
	s_wait_kmcnt 0x0
	s_and_b32 s1, s6, 0x7fffffff
	s_mov_b32 s3, 0
	s_sub_f32 s7, 1.0, s6
	v_dual_mov_b32 v17, v1 :: v_dual_mov_b32 v35, v1
	s_mov_b32 s19, s3
	s_mov_b32 s15, s3
	s_mov_b32 s17, s3
	s_delay_alu instid0(VALU_DEP_1) | instskip(SKIP_3) | instid1(SALU_CYCLE_1)
	v_add_nc_u64_e32 v[6:7], s[12:13], v[16:17]
	v_add_nc_u64_e32 v[8:9], s[8:9], v[16:17]
	;; [unrolled: 1-line block ×3, first 2 shown]
	s_and_b32 s2, s0, 0xffff
	s_lshl_b32 s14, s2, 1
	s_cmp_lt_f32 s1, 0.5
	v_add_nc_u64_e32 v[10:11], s[2:3], v[0:1]
	v_mad_nc_u64_u32 v[22:23], s2, 12, v[16:17]
	s_mul_i32 s16, s2, 3
	s_cselect_b32 s0, -1, 0
	s_lshl_b32 s18, s2, 3
	v_add_nc_u64_e32 v[14:15], s[16:17], v[0:1]
	v_add_nc_u64_e32 v[32:33], s[18:19], v[16:17]
	v_lshlrev_b32_e32 v34, 2, v10
	v_add_nc_u64_e32 v[16:17], s[14:15], v[0:1]
	v_add_nc_u64_e32 v[18:19], s[12:13], v[22:23]
	;; [unrolled: 1-line block ×10, first 2 shown]
	s_lshl_b32 s8, s2, 2
	s_mov_b32 s9, s3
	s_lshl_b32 s10, s2, 4
	s_mov_b32 s11, s3
	s_mov_b64 s[12:13], 0
	s_branch .LBB25_9
.LBB25_8:                               ;   in Loop: Header=BB25_9 Depth=1
	s_wait_xcnt 0x0
	s_or_b32 exec_lo, exec_lo, s1
	s_add_nc_u64 s[12:13], s[12:13], s[8:9]
	v_add_nc_u64_e32 v[6:7], s[10:11], v[6:7]
	v_cmp_ge_i64_e32 vcc_lo, s[12:13], v[2:3]
	v_add_nc_u64_e32 v[8:9], s[10:11], v[8:9]
	v_add_nc_u64_e32 v[12:13], s[10:11], v[12:13]
	;; [unrolled: 1-line block ×11, first 2 shown]
	s_cbranch_vccnz .LBB25_25
.LBB25_9:                               ; =>This Inner Loop Header: Depth=1
	s_wait_loadcnt 0x0
	v_add_nc_u64_e32 v[36:37], s[12:13], v[0:1]
	v_mov_b32_e32 v38, 0
	s_delay_alu instid0(VALU_DEP_2)
	v_cmp_lt_u64_e32 vcc_lo, v[36:37], v[4:5]
	v_mov_b32_e32 v37, 0
	s_and_saveexec_b32 s1, vcc_lo
	s_cbranch_execz .LBB25_11
; %bb.10:                               ;   in Loop: Header=BB25_9 Depth=1
	v_add_nc_u64_e32 v[40:41], s[4:5], v[6:7]
	v_add_nc_u64_e32 v[42:43], s[4:5], v[8:9]
	global_load_b32 v37, v[40:41], off
	global_load_b32 v38, v[42:43], off
.LBB25_11:                              ;   in Loop: Header=BB25_9 Depth=1
	s_wait_xcnt 0x0
	s_or_b32 exec_lo, exec_lo, s1
	v_add_nc_u64_e32 v[40:41], s[12:13], v[10:11]
	v_dual_mov_b32 v36, 0 :: v_dual_mov_b32 v39, 0
	s_delay_alu instid0(VALU_DEP_2)
	v_cmp_lt_u64_e64 s1, v[40:41], v[4:5]
	v_mov_b32_e32 v40, 0
	s_and_saveexec_b32 s2, s1
	s_cbranch_execz .LBB25_13
; %bb.12:                               ;   in Loop: Header=BB25_9 Depth=1
	v_add_nc_u64_e32 v[42:43], s[4:5], v[24:25]
	v_add_nc_u64_e32 v[44:45], s[4:5], v[26:27]
	global_load_b32 v39, v[42:43], off
	global_load_b32 v40, v[44:45], off
.LBB25_13:                              ;   in Loop: Header=BB25_9 Depth=1
	s_wait_xcnt 0x0
	s_or_b32 exec_lo, exec_lo, s2
	v_add_nc_u64_e32 v[42:43], s[12:13], v[16:17]
	v_mov_b32_e32 v41, 0
	s_delay_alu instid0(VALU_DEP_2)
	v_cmp_lt_u64_e64 s2, v[42:43], v[4:5]
	s_and_saveexec_b32 s3, s2
	s_cbranch_execz .LBB25_15
; %bb.14:                               ;   in Loop: Header=BB25_9 Depth=1
	v_add_nc_u64_e32 v[42:43], s[4:5], v[28:29]
	v_add_nc_u64_e32 v[44:45], s[4:5], v[30:31]
	global_load_b32 v41, v[42:43], off
	global_load_b32 v36, v[44:45], off
.LBB25_15:                              ;   in Loop: Header=BB25_9 Depth=1
	s_wait_xcnt 0x0
	s_or_b32 exec_lo, exec_lo, s3
	v_add_nc_u64_e32 v[42:43], s[12:13], v[14:15]
	s_delay_alu instid0(VALU_DEP_1)
	v_cmp_lt_u64_e64 s3, v[42:43], v[4:5]
	v_dual_mov_b32 v43, 0 :: v_dual_mov_b32 v42, 0
	s_and_saveexec_b32 s14, s3
	s_cbranch_execnz .LBB25_20
; %bb.16:                               ;   in Loop: Header=BB25_9 Depth=1
	s_or_b32 exec_lo, exec_lo, s14
	s_and_saveexec_b32 s14, vcc_lo
	s_cbranch_execnz .LBB25_21
.LBB25_17:                              ;   in Loop: Header=BB25_9 Depth=1
	s_or_b32 exec_lo, exec_lo, s14
	s_and_saveexec_b32 s14, s1
	s_cbranch_execnz .LBB25_22
.LBB25_18:                              ;   in Loop: Header=BB25_9 Depth=1
	s_or_b32 exec_lo, exec_lo, s14
	s_and_saveexec_b32 s1, s2
	s_cbranch_execnz .LBB25_23
.LBB25_19:                              ;   in Loop: Header=BB25_9 Depth=1
	s_or_b32 exec_lo, exec_lo, s1
	s_and_saveexec_b32 s1, s3
	s_cbranch_execz .LBB25_8
	s_branch .LBB25_24
.LBB25_20:                              ;   in Loop: Header=BB25_9 Depth=1
	v_add_nc_u64_e32 v[44:45], s[4:5], v[18:19]
	v_add_nc_u64_e32 v[46:47], s[4:5], v[20:21]
	global_load_b32 v42, v[44:45], off
	global_load_b32 v43, v[46:47], off
	s_wait_xcnt 0x0
	s_or_b32 exec_lo, exec_lo, s14
	s_and_saveexec_b32 s14, vcc_lo
	s_cbranch_execz .LBB25_17
.LBB25_21:                              ;   in Loop: Header=BB25_9 Depth=1
	s_wait_loadcnt 0x0
	v_sub_f32_e32 v44, v38, v37
	s_delay_alu instid0(VALU_DEP_1) | instskip(SKIP_1) | instid1(VALU_DEP_2)
	v_dual_fmac_f32 v37, s6, v44 :: v_dual_fma_f32 v38, -s7, v44, v38
	v_add_nc_u64_e32 v[44:45], s[4:5], v[12:13]
	v_cndmask_b32_e64 v37, v38, v37, s0
	global_store_b32 v[44:45], v37, off
	s_wait_xcnt 0x0
	s_or_b32 exec_lo, exec_lo, s14
	s_and_saveexec_b32 s14, s1
	s_cbranch_execz .LBB25_18
.LBB25_22:                              ;   in Loop: Header=BB25_9 Depth=1
	s_wait_loadcnt 0x0
	v_sub_f32_e32 v37, v40, v39
	v_add_nc_u64_e32 v[44:45], s[4:5], v[34:35]
	s_delay_alu instid0(VALU_DEP_2) | instskip(NEXT) | instid1(VALU_DEP_1)
	v_dual_fmac_f32 v39, s6, v37 :: v_dual_fma_f32 v37, -s7, v37, v40
	v_cndmask_b32_e64 v37, v37, v39, s0
	global_store_b32 v[44:45], v37, off
	s_wait_xcnt 0x0
	s_or_b32 exec_lo, exec_lo, s14
	s_and_saveexec_b32 s1, s2
	s_cbranch_execz .LBB25_19
.LBB25_23:                              ;   in Loop: Header=BB25_9 Depth=1
	s_wait_loadcnt 0x0
	v_sub_f32_e32 v37, v36, v41
	s_delay_alu instid0(VALU_DEP_1) | instskip(SKIP_1) | instid1(VALU_DEP_2)
	v_dual_fmac_f32 v41, s6, v37 :: v_dual_fma_f32 v38, -s7, v37, v36
	v_add_nc_u64_e32 v[36:37], s[4:5], v[32:33]
	v_cndmask_b32_e64 v38, v38, v41, s0
	global_store_b32 v[36:37], v38, off
	s_wait_xcnt 0x0
	s_or_b32 exec_lo, exec_lo, s1
	s_and_saveexec_b32 s1, s3
	s_cbranch_execz .LBB25_8
.LBB25_24:                              ;   in Loop: Header=BB25_9 Depth=1
	s_wait_loadcnt 0x0
	v_sub_f32_e32 v36, v43, v42
	s_delay_alu instid0(VALU_DEP_1) | instskip(SKIP_1) | instid1(VALU_DEP_2)
	v_dual_fmac_f32 v42, s6, v36 :: v_dual_fma_f32 v38, -s7, v36, v43
	v_add_nc_u64_e32 v[36:37], s[4:5], v[22:23]
	v_cndmask_b32_e64 v38, v38, v42, s0
	global_store_b32 v[36:37], v38, off
	s_branch .LBB25_8
.LBB25_25:
	s_endpgm
	.section	.rodata,"a",@progbits
	.p2align	6, 0x0
	.amdhsa_kernel _ZN2at6native12_GLOBAL__N_125multi_tensor_apply_kernelINS1_28TensorListScalarListMetadataIfLi3EEENS1_26TernaryOpScalarListFunctorIfLi3ELi2ELi2EEEJNS0_11LerpFunctorIfEEEEEvT_T0_DpT1_
		.amdhsa_group_segment_fixed_size 0
		.amdhsa_private_segment_fixed_size 0
		.amdhsa_kernarg_size 3592
		.amdhsa_user_sgpr_count 2
		.amdhsa_user_sgpr_dispatch_ptr 0
		.amdhsa_user_sgpr_queue_ptr 0
		.amdhsa_user_sgpr_kernarg_segment_ptr 1
		.amdhsa_user_sgpr_dispatch_id 0
		.amdhsa_user_sgpr_kernarg_preload_length 0
		.amdhsa_user_sgpr_kernarg_preload_offset 0
		.amdhsa_user_sgpr_private_segment_size 0
		.amdhsa_wavefront_size32 1
		.amdhsa_uses_dynamic_stack 0
		.amdhsa_enable_private_segment 0
		.amdhsa_system_sgpr_workgroup_id_x 1
		.amdhsa_system_sgpr_workgroup_id_y 0
		.amdhsa_system_sgpr_workgroup_id_z 0
		.amdhsa_system_sgpr_workgroup_info 0
		.amdhsa_system_vgpr_workitem_id 0
		.amdhsa_next_free_vgpr 48
		.amdhsa_next_free_sgpr 24
		.amdhsa_named_barrier_count 0
		.amdhsa_reserve_vcc 1
		.amdhsa_float_round_mode_32 0
		.amdhsa_float_round_mode_16_64 0
		.amdhsa_float_denorm_mode_32 3
		.amdhsa_float_denorm_mode_16_64 3
		.amdhsa_fp16_overflow 0
		.amdhsa_memory_ordered 1
		.amdhsa_forward_progress 1
		.amdhsa_inst_pref_size 12
		.amdhsa_round_robin_scheduling 0
		.amdhsa_exception_fp_ieee_invalid_op 0
		.amdhsa_exception_fp_denorm_src 0
		.amdhsa_exception_fp_ieee_div_zero 0
		.amdhsa_exception_fp_ieee_overflow 0
		.amdhsa_exception_fp_ieee_underflow 0
		.amdhsa_exception_fp_ieee_inexact 0
		.amdhsa_exception_int_div_zero 0
	.end_amdhsa_kernel
	.section	.text._ZN2at6native12_GLOBAL__N_125multi_tensor_apply_kernelINS1_28TensorListScalarListMetadataIfLi3EEENS1_26TernaryOpScalarListFunctorIfLi3ELi2ELi2EEEJNS0_11LerpFunctorIfEEEEEvT_T0_DpT1_,"axG",@progbits,_ZN2at6native12_GLOBAL__N_125multi_tensor_apply_kernelINS1_28TensorListScalarListMetadataIfLi3EEENS1_26TernaryOpScalarListFunctorIfLi3ELi2ELi2EEEJNS0_11LerpFunctorIfEEEEEvT_T0_DpT1_,comdat
.Lfunc_end25:
	.size	_ZN2at6native12_GLOBAL__N_125multi_tensor_apply_kernelINS1_28TensorListScalarListMetadataIfLi3EEENS1_26TernaryOpScalarListFunctorIfLi3ELi2ELi2EEEJNS0_11LerpFunctorIfEEEEEvT_T0_DpT1_, .Lfunc_end25-_ZN2at6native12_GLOBAL__N_125multi_tensor_apply_kernelINS1_28TensorListScalarListMetadataIfLi3EEENS1_26TernaryOpScalarListFunctorIfLi3ELi2ELi2EEEJNS0_11LerpFunctorIfEEEEEvT_T0_DpT1_
                                        ; -- End function
	.set _ZN2at6native12_GLOBAL__N_125multi_tensor_apply_kernelINS1_28TensorListScalarListMetadataIfLi3EEENS1_26TernaryOpScalarListFunctorIfLi3ELi2ELi2EEEJNS0_11LerpFunctorIfEEEEEvT_T0_DpT1_.num_vgpr, 48
	.set _ZN2at6native12_GLOBAL__N_125multi_tensor_apply_kernelINS1_28TensorListScalarListMetadataIfLi3EEENS1_26TernaryOpScalarListFunctorIfLi3ELi2ELi2EEEJNS0_11LerpFunctorIfEEEEEvT_T0_DpT1_.num_agpr, 0
	.set _ZN2at6native12_GLOBAL__N_125multi_tensor_apply_kernelINS1_28TensorListScalarListMetadataIfLi3EEENS1_26TernaryOpScalarListFunctorIfLi3ELi2ELi2EEEJNS0_11LerpFunctorIfEEEEEvT_T0_DpT1_.numbered_sgpr, 24
	.set _ZN2at6native12_GLOBAL__N_125multi_tensor_apply_kernelINS1_28TensorListScalarListMetadataIfLi3EEENS1_26TernaryOpScalarListFunctorIfLi3ELi2ELi2EEEJNS0_11LerpFunctorIfEEEEEvT_T0_DpT1_.num_named_barrier, 0
	.set _ZN2at6native12_GLOBAL__N_125multi_tensor_apply_kernelINS1_28TensorListScalarListMetadataIfLi3EEENS1_26TernaryOpScalarListFunctorIfLi3ELi2ELi2EEEJNS0_11LerpFunctorIfEEEEEvT_T0_DpT1_.private_seg_size, 0
	.set _ZN2at6native12_GLOBAL__N_125multi_tensor_apply_kernelINS1_28TensorListScalarListMetadataIfLi3EEENS1_26TernaryOpScalarListFunctorIfLi3ELi2ELi2EEEJNS0_11LerpFunctorIfEEEEEvT_T0_DpT1_.uses_vcc, 1
	.set _ZN2at6native12_GLOBAL__N_125multi_tensor_apply_kernelINS1_28TensorListScalarListMetadataIfLi3EEENS1_26TernaryOpScalarListFunctorIfLi3ELi2ELi2EEEJNS0_11LerpFunctorIfEEEEEvT_T0_DpT1_.uses_flat_scratch, 0
	.set _ZN2at6native12_GLOBAL__N_125multi_tensor_apply_kernelINS1_28TensorListScalarListMetadataIfLi3EEENS1_26TernaryOpScalarListFunctorIfLi3ELi2ELi2EEEJNS0_11LerpFunctorIfEEEEEvT_T0_DpT1_.has_dyn_sized_stack, 0
	.set _ZN2at6native12_GLOBAL__N_125multi_tensor_apply_kernelINS1_28TensorListScalarListMetadataIfLi3EEENS1_26TernaryOpScalarListFunctorIfLi3ELi2ELi2EEEJNS0_11LerpFunctorIfEEEEEvT_T0_DpT1_.has_recursion, 0
	.set _ZN2at6native12_GLOBAL__N_125multi_tensor_apply_kernelINS1_28TensorListScalarListMetadataIfLi3EEENS1_26TernaryOpScalarListFunctorIfLi3ELi2ELi2EEEJNS0_11LerpFunctorIfEEEEEvT_T0_DpT1_.has_indirect_call, 0
	.section	.AMDGPU.csdata,"",@progbits
; Kernel info:
; codeLenInByte = 1460
; TotalNumSgprs: 26
; NumVgprs: 48
; ScratchSize: 0
; MemoryBound: 0
; FloatMode: 240
; IeeeMode: 1
; LDSByteSize: 0 bytes/workgroup (compile time only)
; SGPRBlocks: 0
; VGPRBlocks: 2
; NumSGPRsForWavesPerEU: 26
; NumVGPRsForWavesPerEU: 48
; NamedBarCnt: 0
; Occupancy: 16
; WaveLimiterHint : 0
; COMPUTE_PGM_RSRC2:SCRATCH_EN: 0
; COMPUTE_PGM_RSRC2:USER_SGPR: 2
; COMPUTE_PGM_RSRC2:TRAP_HANDLER: 0
; COMPUTE_PGM_RSRC2:TGID_X_EN: 1
; COMPUTE_PGM_RSRC2:TGID_Y_EN: 0
; COMPUTE_PGM_RSRC2:TGID_Z_EN: 0
; COMPUTE_PGM_RSRC2:TIDIG_COMP_CNT: 0
	.section	.text._ZN2at6native12_GLOBAL__N_125multi_tensor_apply_kernelINS1_28TensorListScalarListMetadataIN3c107complexIdEELi3EEENS1_26TernaryOpScalarListFunctorIS6_Li3ELi2ELi2EEEJNS0_11LerpFunctorIS6_EEEEEvT_T0_DpT1_,"axG",@progbits,_ZN2at6native12_GLOBAL__N_125multi_tensor_apply_kernelINS1_28TensorListScalarListMetadataIN3c107complexIdEELi3EEENS1_26TernaryOpScalarListFunctorIS6_Li3ELi2ELi2EEEJNS0_11LerpFunctorIS6_EEEEEvT_T0_DpT1_,comdat
	.globl	_ZN2at6native12_GLOBAL__N_125multi_tensor_apply_kernelINS1_28TensorListScalarListMetadataIN3c107complexIdEELi3EEENS1_26TernaryOpScalarListFunctorIS6_Li3ELi2ELi2EEEJNS0_11LerpFunctorIS6_EEEEEvT_T0_DpT1_ ; -- Begin function _ZN2at6native12_GLOBAL__N_125multi_tensor_apply_kernelINS1_28TensorListScalarListMetadataIN3c107complexIdEELi3EEENS1_26TernaryOpScalarListFunctorIS6_Li3ELi2ELi2EEEJNS0_11LerpFunctorIS6_EEEEEvT_T0_DpT1_
	.p2align	8
	.type	_ZN2at6native12_GLOBAL__N_125multi_tensor_apply_kernelINS1_28TensorListScalarListMetadataIN3c107complexIdEELi3EEENS1_26TernaryOpScalarListFunctorIS6_Li3ELi2ELi2EEEJNS0_11LerpFunctorIS6_EEEEEvT_T0_DpT1_,@function
_ZN2at6native12_GLOBAL__N_125multi_tensor_apply_kernelINS1_28TensorListScalarListMetadataIN3c107complexIdEELi3EEENS1_26TernaryOpScalarListFunctorIS6_Li3ELi2ELi2EEEJNS0_11LerpFunctorIS6_EEEEEvT_T0_DpT1_: ; @_ZN2at6native12_GLOBAL__N_125multi_tensor_apply_kernelINS1_28TensorListScalarListMetadataIN3c107complexIdEELi3EEENS1_26TernaryOpScalarListFunctorIS6_Li3ELi2ELi2EEEJNS0_11LerpFunctorIS6_EEEEEvT_T0_DpT1_
; %bb.0:
	s_bfe_u32 s2, ttmp6, 0x4000c
	s_and_b32 s3, ttmp6, 15
	s_add_co_i32 s2, s2, 1
	s_getreg_b32 s4, hwreg(HW_REG_IB_STS2, 6, 4)
	s_mul_i32 s2, ttmp9, s2
	s_delay_alu instid0(SALU_CYCLE_1)
	s_add_co_i32 s3, s3, s2
	s_cmp_eq_u32 s4, 0
	s_cselect_b32 s2, ttmp9, s3
	s_mov_b32 s3, 0
	s_load_u8 s12, s[0:1], s2 offset:0x900
	s_add_nc_u64 s[4:5], s[0:1], s[2:3]
	s_mul_u64 s[6:7], s[2:3], 3
	s_delay_alu instid0(SALU_CYCLE_1)
	s_add_nc_u64 s[4:5], s[4:5], s[6:7]
	s_load_b32 s8, s[4:5], 0xa40
	s_wait_kmcnt 0x0
	s_clause 0x3
	s_load_b64 s[6:7], s[0:1], s12 offset:0x180 scale_offset
	s_load_b64 s[10:11], s[0:1], s12 offset:0x300 scale_offset
	;; [unrolled: 1-line block ×4, first 2 shown]
	s_lshl_b32 s2, s12, 3
	s_delay_alu instid0(SALU_CYCLE_1) | instskip(SKIP_1) | instid1(SALU_CYCLE_1)
	s_add_nc_u64 s[18:19], s[0:1], s[2:3]
	s_ashr_i32 s9, s8, 31
	s_lshl_b64 s[4:5], s[8:9], 20
	s_lshl_b64 s[20:21], s[8:9], 16
	s_wait_kmcnt 0x0
	s_add_nc_u64 s[6:7], s[6:7], s[4:5]
	s_add_nc_u64 s[12:13], s[10:11], s[4:5]
	;; [unrolled: 1-line block ×3, first 2 shown]
	s_or_b32 s8, s12, s6
	s_and_b64 s[4:5], s[14:15], 63
	s_and_b32 s8, s8, 63
	s_delay_alu instid0(SALU_CYCLE_1) | instskip(SKIP_4) | instid1(SALU_CYCLE_1)
	s_cmp_lg_u32 s8, 0
	s_load_b128 s[8:11], s[18:19], s2 offset:0x600
	s_wait_xcnt 0x0
	s_cselect_b32 s18, -1, 0
	s_and_b32 s2, s16, 3
	s_or_b64 s[2:3], s[4:5], s[2:3]
	s_sub_nc_u64 s[4:5], s[16:17], s[20:21]
	s_cmp_lg_u64 s[2:3], 0
	s_cselect_b32 s2, -1, 0
	s_delay_alu instid0(SALU_CYCLE_1) | instskip(NEXT) | instid1(SALU_CYCLE_1)
	s_or_b32 s2, s18, s2
	s_and_not1_b32 vcc_lo, exec_lo, s2
	s_mov_b32 s2, -1
	s_cbranch_vccz .LBB26_21
; %bb.1:
	v_min_i64 v[38:39], 0x10000, s[4:5]
	v_dual_mov_b32 v41, 0 :: v_dual_lshlrev_b32 v40, 2, v0
	s_mov_b32 s3, exec_lo
	s_delay_alu instid0(VALU_DEP_1)
	v_cmpx_lt_i64_e64 v[40:41], v[38:39]
	s_cbranch_execz .LBB26_20
; %bb.2:
	s_wait_kmcnt 0x0
	v_mul_f64_e64 v[2:3], s[10:11], s[10:11]
	v_add_f64_e64 v[42:43], -s[8:9], 1.0
	v_add_f64_e64 v[44:45], -s[10:11], 0
	s_load_b32 s16, s[0:1], 0xf54
	v_dual_mov_b32 v1, v41 :: v_dual_lshlrev_b32 v40, 6, v0
	s_mov_b32 s17, 0
	s_mov_b64 s[20:21], s[6:7]
	s_mov_b32 s19, s17
	s_delay_alu instid0(VALU_DEP_1)
	v_mov_b64_e32 v[46:47], v[0:1]
	s_mov_b32 s26, s17
	s_mov_b64 s[22:23], s[14:15]
	s_mov_b64 s[24:25], s[12:13]
	s_wait_kmcnt 0x0
	s_and_b32 s16, s16, 0xffff
	s_delay_alu instid0(SALU_CYCLE_1) | instskip(SKIP_1) | instid1(VALU_DEP_1)
	s_lshl_b32 s18, s16, 6
	v_fmac_f64_e64 v[2:3], s[8:9], s[8:9]
	v_cmp_ngt_f64_e64 s2, 0x3fd00000, v[2:3]
	s_branch .LBB26_4
.LBB26_3:                               ;   in Loop: Header=BB26_4 Depth=1
	v_add_nc_u64_e32 v[46:47], s[16:17], v[46:47]
	v_add_nc_u64_e32 v[8:9], s[24:25], v[40:41]
	s_add_nc_u64 s[24:25], s[24:25], s[18:19]
	s_add_nc_u64 s[22:23], s[22:23], s[18:19]
	;; [unrolled: 1-line block ×3, first 2 shown]
	s_clause 0x1
	global_store_b128 v[8:9], v[2:5], off
	global_store_b128 v[8:9], v[14:17], off offset:16
	v_lshlrev_b64_e32 v[6:7], 2, v[46:47]
	s_clause 0x1
	global_store_b128 v[8:9], v[26:29], off offset:32
	global_store_b128 v[8:9], v[18:21], off offset:48
	v_cmp_ge_i64_e32 vcc_lo, v[6:7], v[38:39]
	s_or_b32 s26, vcc_lo, s26
	s_wait_xcnt 0x0
	s_and_not1_b32 exec_lo, exec_lo, s26
	s_cbranch_execz .LBB26_20
.LBB26_4:                               ; =>This Inner Loop Header: Depth=1
	v_add_nc_u64_e32 v[2:3], s[20:21], v[40:41]
	v_add_nc_u64_e32 v[4:5], s[22:23], v[40:41]
	s_delay_alu instid0(VALU_DEP_3)
	s_and_b32 vcc_lo, exec_lo, s2
	s_mov_b32 s27, -1
	global_load_b128 v[34:37], v[2:3], off
	s_clause 0x1
	global_load_b128 v[14:17], v[4:5], off
	global_load_b128 v[26:29], v[4:5], off offset:16
	global_load_b128 v[30:33], v[2:3], off offset:16
	s_clause 0x1
	global_load_b128 v[6:9], v[4:5], off offset:48
	global_load_b128 v[18:21], v[4:5], off offset:32
	s_clause 0x1
	global_load_b128 v[10:13], v[2:3], off offset:48
	global_load_b128 v[22:25], v[2:3], off offset:32
                                        ; implicit-def: $vgpr4_vgpr5
	s_wait_loadcnt 0x6
	v_add_f64_e64 v[48:49], v[34:35], -v[14:15]
	v_add_f64_e64 v[50:51], v[36:37], -v[16:17]
	s_cbranch_vccz .LBB26_6
; %bb.5:                                ;   in Loop: Header=BB26_4 Depth=1
	s_wait_xcnt 0x0
	s_delay_alu instid0(VALU_DEP_1) | instskip(SKIP_2) | instid1(VALU_DEP_2)
	v_mul_f64_e32 v[2:3], v[44:45], v[50:51]
	v_mul_f64_e32 v[4:5], v[42:43], v[50:51]
	s_mov_b32 s27, 0
	v_fma_f64 v[2:3], v[42:43], v[48:49], -v[2:3]
	s_delay_alu instid0(VALU_DEP_2) | instskip(NEXT) | instid1(VALU_DEP_2)
	v_fmac_f64_e32 v[4:5], v[44:45], v[48:49]
	v_add_f64_e64 v[2:3], v[34:35], -v[2:3]
	s_delay_alu instid0(VALU_DEP_2)
	v_add_f64_e64 v[4:5], v[36:37], -v[4:5]
.LBB26_6:                               ;   in Loop: Header=BB26_4 Depth=1
	s_and_not1_b32 vcc_lo, exec_lo, s27
	s_cbranch_vccnz .LBB26_8
; %bb.7:                                ;   in Loop: Header=BB26_4 Depth=1
	s_wait_xcnt 0x0
	s_delay_alu instid0(VALU_DEP_1) | instskip(SKIP_1) | instid1(VALU_DEP_2)
	v_mul_f64_e32 v[2:3], s[10:11], v[50:51]
	v_mul_f64_e32 v[4:5], s[8:9], v[50:51]
	v_fma_f64 v[2:3], s[8:9], v[48:49], -v[2:3]
	s_delay_alu instid0(VALU_DEP_2) | instskip(NEXT) | instid1(VALU_DEP_2)
	v_fmac_f64_e32 v[4:5], s[10:11], v[48:49]
	v_add_f64_e32 v[2:3], v[14:15], v[2:3]
	s_delay_alu instid0(VALU_DEP_2)
	v_add_f64_e32 v[4:5], v[16:17], v[4:5]
.LBB26_8:                               ;   in Loop: Header=BB26_4 Depth=1
	s_wait_loadcnt 0x4
	v_add_f64_e64 v[34:35], v[30:31], -v[26:27]
	v_add_f64_e64 v[36:37], v[32:33], -v[28:29]
	s_and_not1_b32 vcc_lo, exec_lo, s2
	s_mov_b32 s27, -1
                                        ; implicit-def: $vgpr16_vgpr17
	s_cbranch_vccnz .LBB26_10
; %bb.9:                                ;   in Loop: Header=BB26_4 Depth=1
	s_delay_alu instid0(VALU_DEP_1) | instskip(SKIP_2) | instid1(VALU_DEP_2)
	v_mul_f64_e32 v[14:15], v[44:45], v[36:37]
	v_mul_f64_e32 v[16:17], v[42:43], v[36:37]
	s_mov_b32 s27, 0
	v_fma_f64 v[14:15], v[42:43], v[34:35], -v[14:15]
	s_delay_alu instid0(VALU_DEP_2) | instskip(NEXT) | instid1(VALU_DEP_2)
	v_fmac_f64_e32 v[16:17], v[44:45], v[34:35]
	v_add_f64_e64 v[14:15], v[30:31], -v[14:15]
	s_delay_alu instid0(VALU_DEP_2)
	v_add_f64_e64 v[16:17], v[32:33], -v[16:17]
.LBB26_10:                              ;   in Loop: Header=BB26_4 Depth=1
	s_and_not1_b32 vcc_lo, exec_lo, s27
	s_cbranch_vccnz .LBB26_12
; %bb.11:                               ;   in Loop: Header=BB26_4 Depth=1
	s_delay_alu instid0(VALU_DEP_1) | instskip(SKIP_1) | instid1(VALU_DEP_2)
	v_mul_f64_e32 v[14:15], s[10:11], v[36:37]
	v_mul_f64_e32 v[16:17], s[8:9], v[36:37]
	v_fma_f64 v[14:15], s[8:9], v[34:35], -v[14:15]
	s_delay_alu instid0(VALU_DEP_2) | instskip(NEXT) | instid1(VALU_DEP_2)
	v_fmac_f64_e32 v[16:17], s[10:11], v[34:35]
	v_add_f64_e32 v[14:15], v[26:27], v[14:15]
	s_delay_alu instid0(VALU_DEP_2)
	v_add_f64_e32 v[16:17], v[28:29], v[16:17]
.LBB26_12:                              ;   in Loop: Header=BB26_4 Depth=1
	s_wait_loadcnt 0x0
	v_add_f64_e64 v[30:31], v[22:23], -v[18:19]
	v_add_f64_e64 v[32:33], v[24:25], -v[20:21]
	s_and_not1_b32 vcc_lo, exec_lo, s2
	s_mov_b32 s27, -1
                                        ; implicit-def: $vgpr28_vgpr29
	s_cbranch_vccnz .LBB26_14
; %bb.13:                               ;   in Loop: Header=BB26_4 Depth=1
	s_delay_alu instid0(VALU_DEP_1) | instskip(SKIP_2) | instid1(VALU_DEP_2)
	v_mul_f64_e32 v[26:27], v[44:45], v[32:33]
	v_mul_f64_e32 v[28:29], v[42:43], v[32:33]
	s_mov_b32 s27, 0
	v_fma_f64 v[26:27], v[42:43], v[30:31], -v[26:27]
	s_delay_alu instid0(VALU_DEP_2) | instskip(NEXT) | instid1(VALU_DEP_2)
	v_fmac_f64_e32 v[28:29], v[44:45], v[30:31]
	v_add_f64_e64 v[26:27], v[22:23], -v[26:27]
	s_delay_alu instid0(VALU_DEP_2)
	v_add_f64_e64 v[28:29], v[24:25], -v[28:29]
.LBB26_14:                              ;   in Loop: Header=BB26_4 Depth=1
	s_and_not1_b32 vcc_lo, exec_lo, s27
	s_cbranch_vccnz .LBB26_16
; %bb.15:                               ;   in Loop: Header=BB26_4 Depth=1
	s_delay_alu instid0(VALU_DEP_1) | instskip(SKIP_1) | instid1(VALU_DEP_2)
	v_mul_f64_e32 v[22:23], s[10:11], v[32:33]
	v_mul_f64_e32 v[24:25], s[8:9], v[32:33]
	v_fma_f64 v[22:23], s[8:9], v[30:31], -v[22:23]
	s_delay_alu instid0(VALU_DEP_2) | instskip(NEXT) | instid1(VALU_DEP_2)
	v_fmac_f64_e32 v[24:25], s[10:11], v[30:31]
	v_add_f64_e32 v[26:27], v[18:19], v[22:23]
	s_delay_alu instid0(VALU_DEP_2)
	v_add_f64_e32 v[28:29], v[20:21], v[24:25]
.LBB26_16:                              ;   in Loop: Header=BB26_4 Depth=1
	v_add_f64_e64 v[22:23], v[10:11], -v[6:7]
	v_add_f64_e64 v[24:25], v[12:13], -v[8:9]
	s_and_not1_b32 vcc_lo, exec_lo, s2
	s_mov_b32 s27, -1
                                        ; implicit-def: $vgpr20_vgpr21
	s_cbranch_vccnz .LBB26_18
; %bb.17:                               ;   in Loop: Header=BB26_4 Depth=1
	s_delay_alu instid0(VALU_DEP_1) | instskip(SKIP_2) | instid1(VALU_DEP_2)
	v_mul_f64_e32 v[18:19], v[44:45], v[24:25]
	v_mul_f64_e32 v[20:21], v[42:43], v[24:25]
	s_mov_b32 s27, 0
	v_fma_f64 v[18:19], v[42:43], v[22:23], -v[18:19]
	s_delay_alu instid0(VALU_DEP_2) | instskip(NEXT) | instid1(VALU_DEP_2)
	v_fmac_f64_e32 v[20:21], v[44:45], v[22:23]
	v_add_f64_e64 v[18:19], v[10:11], -v[18:19]
	s_delay_alu instid0(VALU_DEP_2)
	v_add_f64_e64 v[20:21], v[12:13], -v[20:21]
.LBB26_18:                              ;   in Loop: Header=BB26_4 Depth=1
	s_and_not1_b32 vcc_lo, exec_lo, s27
	s_cbranch_vccnz .LBB26_3
; %bb.19:                               ;   in Loop: Header=BB26_4 Depth=1
	s_delay_alu instid0(VALU_DEP_1) | instskip(SKIP_1) | instid1(VALU_DEP_2)
	v_mul_f64_e32 v[10:11], s[10:11], v[24:25]
	v_mul_f64_e32 v[12:13], s[8:9], v[24:25]
	v_fma_f64 v[10:11], s[8:9], v[22:23], -v[10:11]
	s_delay_alu instid0(VALU_DEP_2) | instskip(NEXT) | instid1(VALU_DEP_2)
	v_fmac_f64_e32 v[12:13], s[10:11], v[22:23]
	v_add_f64_e32 v[18:19], v[6:7], v[10:11]
	s_delay_alu instid0(VALU_DEP_2)
	v_add_f64_e32 v[20:21], v[8:9], v[12:13]
	s_branch .LBB26_3
.LBB26_20:
	s_or_b32 exec_lo, exec_lo, s3
	s_mov_b32 s2, 0
.LBB26_21:
	s_delay_alu instid0(SALU_CYCLE_1)
	s_and_not1_b32 vcc_lo, exec_lo, s2
	s_cbranch_vccnz .LBB26_57
; %bb.22:
	v_cmp_lt_i64_e64 s2, s[4:5], 1
	s_and_b32 vcc_lo, exec_lo, s2
	s_cbranch_vccnz .LBB26_57
; %bb.23:
	s_wait_kmcnt 0x0
	v_mul_f64_e64 v[2:3], s[10:11], s[10:11]
	v_min_i64 v[38:39], 0x10000, s[4:5]
	v_min_u64 v[40:41], 0x10000, s[4:5]
	v_add_f64_e64 v[42:43], -s[8:9], 1.0
	v_add_f64_e64 v[44:45], -s[10:11], 0
	s_load_b32 s0, s[0:1], 0xf54
	v_mov_b32_e32 v1, 0
	s_mov_b32 s17, 0
	s_mov_b64 s[22:23], 0
	s_mov_b32 s19, s17
	s_mov_b32 s21, s17
	s_mov_b32 s25, s17
	s_wait_kmcnt 0x0
	s_and_b32 s16, s0, 0xffff
	s_delay_alu instid0(SALU_CYCLE_1) | instskip(SKIP_3) | instid1(VALU_DEP_1)
	s_lshl_b32 s18, s16, 1
	s_mul_i32 s20, s16, 3
	s_lshl_b32 s24, s16, 2
	v_fmac_f64_e64 v[2:3], s[8:9], s[8:9]
	v_cmp_ngt_f64_e64 s2, 0x3fd00000, v[2:3]
	s_branch .LBB26_25
.LBB26_24:                              ;   in Loop: Header=BB26_25 Depth=1
	s_wait_xcnt 0x0
	s_or_b32 exec_lo, exec_lo, s0
	s_add_nc_u64 s[22:23], s[22:23], s[24:25]
	s_delay_alu instid0(SALU_CYCLE_1)
	v_cmp_ge_i64_e32 vcc_lo, s[22:23], v[38:39]
	s_cbranch_vccnz .LBB26_57
.LBB26_25:                              ; =>This Inner Loop Header: Depth=1
	v_add_nc_u64_e32 v[46:47], s[22:23], v[0:1]
	v_mov_b64_e32 v[8:9], 0
	v_mov_b64_e32 v[36:37], 0
	;; [unrolled: 1-line block ×5, first 2 shown]
	v_cmp_lt_u64_e64 s0, v[46:47], v[40:41]
	s_and_saveexec_b32 s1, s0
	s_cbranch_execz .LBB26_27
; %bb.26:                               ;   in Loop: Header=BB26_25 Depth=1
	v_lshlrev_b64_e32 v[2:3], 4, v[46:47]
	s_delay_alu instid0(VALU_DEP_1)
	v_add_nc_u64_e32 v[4:5], s[14:15], v[2:3]
	v_add_nc_u64_e32 v[2:3], s[6:7], v[2:3]
	global_load_b128 v[22:25], v[4:5], off
	global_load_b128 v[34:37], v[2:3], off
.LBB26_27:                              ;   in Loop: Header=BB26_25 Depth=1
	s_wait_xcnt 0x0
	s_or_b32 exec_lo, exec_lo, s1
	v_add_nc_u64_e32 v[48:49], s[16:17], v[46:47]
	v_mov_b64_e32 v[6:7], 0
	v_mov_b64_e32 v[20:21], 0
	;; [unrolled: 1-line block ×3, first 2 shown]
	s_delay_alu instid0(VALU_DEP_4)
	v_cmp_lt_u64_e64 s1, v[48:49], v[40:41]
	s_and_saveexec_b32 s3, s1
	s_cbranch_execz .LBB26_29
; %bb.28:                               ;   in Loop: Header=BB26_25 Depth=1
	v_lshlrev_b64_e32 v[2:3], 4, v[48:49]
	s_delay_alu instid0(VALU_DEP_1)
	v_add_nc_u64_e32 v[4:5], s[14:15], v[2:3]
	v_add_nc_u64_e32 v[2:3], s[6:7], v[2:3]
	global_load_b128 v[18:21], v[4:5], off
	global_load_b128 v[6:9], v[2:3], off
.LBB26_29:                              ;   in Loop: Header=BB26_25 Depth=1
	s_wait_xcnt 0x0
	s_or_b32 exec_lo, exec_lo, s3
	v_add_nc_u64_e32 v[50:51], s[18:19], v[46:47]
	v_mov_b64_e32 v[4:5], 0
	v_mov_b64_e32 v[28:29], 0
	v_mov_b64_e32 v[26:27], 0
	v_mov_b64_e32 v[16:17], 0
	v_mov_b64_e32 v[14:15], 0
	v_cmp_lt_u64_e64 s3, v[50:51], v[40:41]
	s_and_saveexec_b32 s4, s3
	s_cbranch_execz .LBB26_31
; %bb.30:                               ;   in Loop: Header=BB26_25 Depth=1
	v_lshlrev_b64_e32 v[2:3], 4, v[50:51]
	s_delay_alu instid0(VALU_DEP_1)
	v_add_nc_u64_e32 v[10:11], s[14:15], v[2:3]
	v_add_nc_u64_e32 v[2:3], s[6:7], v[2:3]
	global_load_b128 v[14:17], v[10:11], off
	global_load_b128 v[26:29], v[2:3], off
.LBB26_31:                              ;   in Loop: Header=BB26_25 Depth=1
	s_wait_xcnt 0x0
	s_or_b32 exec_lo, exec_lo, s4
	v_add_nc_u64_e32 v[52:53], s[20:21], v[46:47]
	v_mov_b64_e32 v[2:3], 0
	v_mov_b64_e32 v[12:13], 0
	;; [unrolled: 1-line block ×3, first 2 shown]
	s_delay_alu instid0(VALU_DEP_4)
	v_cmp_lt_u64_e64 s4, v[52:53], v[40:41]
	s_and_saveexec_b32 s5, s4
	s_cbranch_execz .LBB26_33
; %bb.32:                               ;   in Loop: Header=BB26_25 Depth=1
	v_lshlrev_b64_e32 v[2:3], 4, v[52:53]
	s_delay_alu instid0(VALU_DEP_1)
	v_add_nc_u64_e32 v[30:31], s[14:15], v[2:3]
	v_add_nc_u64_e32 v[32:33], s[6:7], v[2:3]
	global_load_b128 v[10:13], v[30:31], off
	global_load_b128 v[2:5], v[32:33], off
.LBB26_33:                              ;   in Loop: Header=BB26_25 Depth=1
	s_wait_xcnt 0x0
	s_or_b32 exec_lo, exec_lo, s5
	s_wait_loadcnt 0x0
	v_add_f64_e64 v[56:57], v[34:35], -v[22:23]
	v_add_f64_e64 v[54:55], v[36:37], -v[24:25]
	s_and_b32 vcc_lo, exec_lo, s2
	s_mov_b32 s5, -1
                                        ; implicit-def: $vgpr32_vgpr33
	s_cbranch_vccz .LBB26_35
; %bb.34:                               ;   in Loop: Header=BB26_25 Depth=1
	s_delay_alu instid0(VALU_DEP_1) | instskip(NEXT) | instid1(VALU_DEP_3)
	v_mul_f64_e32 v[30:31], v[44:45], v[54:55]
	v_mul_f64_e32 v[32:33], v[44:45], v[56:57]
	s_mov_b32 s5, 0
	s_delay_alu instid0(VALU_DEP_2) | instskip(NEXT) | instid1(VALU_DEP_2)
	v_fma_f64 v[30:31], v[42:43], v[56:57], -v[30:31]
	v_fmac_f64_e32 v[32:33], v[42:43], v[54:55]
	s_delay_alu instid0(VALU_DEP_2) | instskip(NEXT) | instid1(VALU_DEP_2)
	v_add_f64_e64 v[30:31], v[34:35], -v[30:31]
	v_add_f64_e64 v[32:33], v[36:37], -v[32:33]
.LBB26_35:                              ;   in Loop: Header=BB26_25 Depth=1
	s_and_not1_b32 vcc_lo, exec_lo, s5
	s_cbranch_vccnz .LBB26_37
; %bb.36:                               ;   in Loop: Header=BB26_25 Depth=1
	s_delay_alu instid0(VALU_DEP_1) | instskip(NEXT) | instid1(VALU_DEP_3)
	v_mul_f64_e32 v[30:31], s[10:11], v[54:55]
	v_mul_f64_e32 v[32:33], s[10:11], v[56:57]
	s_delay_alu instid0(VALU_DEP_2) | instskip(NEXT) | instid1(VALU_DEP_2)
	v_fma_f64 v[30:31], s[8:9], v[56:57], -v[30:31]
	v_fmac_f64_e32 v[32:33], s[8:9], v[54:55]
	s_delay_alu instid0(VALU_DEP_2) | instskip(NEXT) | instid1(VALU_DEP_2)
	v_add_f64_e32 v[30:31], v[22:23], v[30:31]
	v_add_f64_e32 v[32:33], v[24:25], v[32:33]
.LBB26_37:                              ;   in Loop: Header=BB26_25 Depth=1
	v_add_f64_e64 v[36:37], v[6:7], -v[18:19]
	v_add_f64_e64 v[34:35], v[8:9], -v[20:21]
	s_and_not1_b32 vcc_lo, exec_lo, s2
	s_mov_b32 s5, -1
                                        ; implicit-def: $vgpr24_vgpr25
	s_cbranch_vccnz .LBB26_39
; %bb.38:                               ;   in Loop: Header=BB26_25 Depth=1
	s_delay_alu instid0(VALU_DEP_1) | instskip(NEXT) | instid1(VALU_DEP_3)
	v_mul_f64_e32 v[22:23], v[44:45], v[34:35]
	v_mul_f64_e32 v[24:25], v[44:45], v[36:37]
	s_mov_b32 s5, 0
	s_delay_alu instid0(VALU_DEP_2) | instskip(NEXT) | instid1(VALU_DEP_2)
	v_fma_f64 v[22:23], v[42:43], v[36:37], -v[22:23]
	v_fmac_f64_e32 v[24:25], v[42:43], v[34:35]
	s_delay_alu instid0(VALU_DEP_2) | instskip(NEXT) | instid1(VALU_DEP_2)
	v_add_f64_e64 v[22:23], v[6:7], -v[22:23]
	v_add_f64_e64 v[24:25], v[8:9], -v[24:25]
.LBB26_39:                              ;   in Loop: Header=BB26_25 Depth=1
	s_and_not1_b32 vcc_lo, exec_lo, s5
	s_cbranch_vccnz .LBB26_41
; %bb.40:                               ;   in Loop: Header=BB26_25 Depth=1
	s_delay_alu instid0(VALU_DEP_1) | instskip(NEXT) | instid1(VALU_DEP_3)
	v_mul_f64_e32 v[6:7], s[10:11], v[34:35]
	v_mul_f64_e32 v[8:9], s[10:11], v[36:37]
	s_delay_alu instid0(VALU_DEP_2) | instskip(NEXT) | instid1(VALU_DEP_2)
	v_fma_f64 v[6:7], s[8:9], v[36:37], -v[6:7]
	v_fmac_f64_e32 v[8:9], s[8:9], v[34:35]
	s_delay_alu instid0(VALU_DEP_2) | instskip(NEXT) | instid1(VALU_DEP_2)
	v_add_f64_e32 v[22:23], v[18:19], v[6:7]
	v_add_f64_e32 v[24:25], v[20:21], v[8:9]
.LBB26_41:                              ;   in Loop: Header=BB26_25 Depth=1
	v_add_f64_e64 v[20:21], v[26:27], -v[14:15]
	v_add_f64_e64 v[18:19], v[28:29], -v[16:17]
	s_and_not1_b32 vcc_lo, exec_lo, s2
	s_mov_b32 s5, -1
                                        ; implicit-def: $vgpr8_vgpr9
	s_cbranch_vccnz .LBB26_43
; %bb.42:                               ;   in Loop: Header=BB26_25 Depth=1
	s_delay_alu instid0(VALU_DEP_1) | instskip(NEXT) | instid1(VALU_DEP_3)
	v_mul_f64_e32 v[6:7], v[44:45], v[18:19]
	v_mul_f64_e32 v[8:9], v[44:45], v[20:21]
	s_mov_b32 s5, 0
	s_delay_alu instid0(VALU_DEP_2) | instskip(NEXT) | instid1(VALU_DEP_2)
	v_fma_f64 v[6:7], v[42:43], v[20:21], -v[6:7]
	v_fmac_f64_e32 v[8:9], v[42:43], v[18:19]
	s_delay_alu instid0(VALU_DEP_2) | instskip(NEXT) | instid1(VALU_DEP_2)
	v_add_f64_e64 v[6:7], v[26:27], -v[6:7]
	v_add_f64_e64 v[8:9], v[28:29], -v[8:9]
.LBB26_43:                              ;   in Loop: Header=BB26_25 Depth=1
	s_and_not1_b32 vcc_lo, exec_lo, s5
	s_cbranch_vccnz .LBB26_45
; %bb.44:                               ;   in Loop: Header=BB26_25 Depth=1
	s_delay_alu instid0(VALU_DEP_1) | instskip(NEXT) | instid1(VALU_DEP_3)
	v_mul_f64_e32 v[6:7], s[10:11], v[18:19]
	v_mul_f64_e32 v[8:9], s[10:11], v[20:21]
	s_delay_alu instid0(VALU_DEP_2) | instskip(NEXT) | instid1(VALU_DEP_2)
	v_fma_f64 v[6:7], s[8:9], v[20:21], -v[6:7]
	v_fmac_f64_e32 v[8:9], s[8:9], v[18:19]
	s_delay_alu instid0(VALU_DEP_2) | instskip(NEXT) | instid1(VALU_DEP_2)
	v_add_f64_e32 v[6:7], v[14:15], v[6:7]
	v_add_f64_e32 v[8:9], v[16:17], v[8:9]
.LBB26_45:                              ;   in Loop: Header=BB26_25 Depth=1
	v_add_f64_e64 v[20:21], v[2:3], -v[10:11]
	v_add_f64_e64 v[18:19], v[4:5], -v[12:13]
	s_and_not1_b32 vcc_lo, exec_lo, s2
	s_mov_b32 s5, -1
                                        ; implicit-def: $vgpr16_vgpr17
	s_cbranch_vccz .LBB26_51
; %bb.46:                               ;   in Loop: Header=BB26_25 Depth=1
	s_and_not1_b32 vcc_lo, exec_lo, s5
	s_cbranch_vccz .LBB26_52
.LBB26_47:                              ;   in Loop: Header=BB26_25 Depth=1
	s_and_saveexec_b32 s5, s0
	s_delay_alu instid0(SALU_CYCLE_1)
	s_xor_b32 s0, exec_lo, s5
	s_cbranch_execnz .LBB26_53
.LBB26_48:                              ;   in Loop: Header=BB26_25 Depth=1
	s_or_b32 exec_lo, exec_lo, s0
	s_and_saveexec_b32 s0, s1
	s_cbranch_execnz .LBB26_54
.LBB26_49:                              ;   in Loop: Header=BB26_25 Depth=1
	s_or_b32 exec_lo, exec_lo, s0
	s_and_saveexec_b32 s0, s3
	s_cbranch_execnz .LBB26_55
.LBB26_50:                              ;   in Loop: Header=BB26_25 Depth=1
	s_or_b32 exec_lo, exec_lo, s0
	s_and_saveexec_b32 s0, s4
	s_cbranch_execz .LBB26_24
	s_branch .LBB26_56
.LBB26_51:                              ;   in Loop: Header=BB26_25 Depth=1
	s_delay_alu instid0(VALU_DEP_1) | instskip(NEXT) | instid1(VALU_DEP_3)
	v_mul_f64_e32 v[14:15], v[44:45], v[18:19]
	v_mul_f64_e32 v[16:17], v[44:45], v[20:21]
	s_delay_alu instid0(VALU_DEP_2) | instskip(NEXT) | instid1(VALU_DEP_2)
	v_fma_f64 v[14:15], v[42:43], v[20:21], -v[14:15]
	v_fmac_f64_e32 v[16:17], v[42:43], v[18:19]
	s_delay_alu instid0(VALU_DEP_2) | instskip(NEXT) | instid1(VALU_DEP_2)
	v_add_f64_e64 v[14:15], v[2:3], -v[14:15]
	v_add_f64_e64 v[16:17], v[4:5], -v[16:17]
	s_cbranch_execnz .LBB26_47
.LBB26_52:                              ;   in Loop: Header=BB26_25 Depth=1
	s_delay_alu instid0(VALU_DEP_1) | instskip(NEXT) | instid1(VALU_DEP_3)
	v_mul_f64_e32 v[2:3], s[10:11], v[18:19]
	v_mul_f64_e32 v[4:5], s[10:11], v[20:21]
	s_delay_alu instid0(VALU_DEP_2) | instskip(NEXT) | instid1(VALU_DEP_2)
	v_fma_f64 v[2:3], s[8:9], v[20:21], -v[2:3]
	v_fmac_f64_e32 v[4:5], s[8:9], v[18:19]
	s_delay_alu instid0(VALU_DEP_2) | instskip(NEXT) | instid1(VALU_DEP_2)
	v_add_f64_e32 v[14:15], v[10:11], v[2:3]
	v_add_f64_e32 v[16:17], v[12:13], v[4:5]
	s_and_saveexec_b32 s5, s0
	s_delay_alu instid0(SALU_CYCLE_1)
	s_xor_b32 s0, exec_lo, s5
	s_cbranch_execz .LBB26_48
.LBB26_53:                              ;   in Loop: Header=BB26_25 Depth=1
	v_lshl_add_u64 v[2:3], v[46:47], 4, s[12:13]
	global_store_b128 v[2:3], v[30:33], off
	s_wait_xcnt 0x0
	s_or_b32 exec_lo, exec_lo, s0
	s_and_saveexec_b32 s0, s1
	s_cbranch_execz .LBB26_49
.LBB26_54:                              ;   in Loop: Header=BB26_25 Depth=1
	v_lshl_add_u64 v[2:3], v[48:49], 4, s[12:13]
	global_store_b128 v[2:3], v[22:25], off
	s_wait_xcnt 0x0
	s_or_b32 exec_lo, exec_lo, s0
	s_and_saveexec_b32 s0, s3
	s_cbranch_execz .LBB26_50
.LBB26_55:                              ;   in Loop: Header=BB26_25 Depth=1
	v_lshl_add_u64 v[2:3], v[50:51], 4, s[12:13]
	global_store_b128 v[2:3], v[6:9], off
	s_wait_xcnt 0x0
	s_or_b32 exec_lo, exec_lo, s0
	s_and_saveexec_b32 s0, s4
	s_cbranch_execz .LBB26_24
.LBB26_56:                              ;   in Loop: Header=BB26_25 Depth=1
	v_lshl_add_u64 v[2:3], v[52:53], 4, s[12:13]
	global_store_b128 v[2:3], v[14:17], off
	s_branch .LBB26_24
.LBB26_57:
	s_endpgm
	.section	.rodata,"a",@progbits
	.p2align	6, 0x0
	.amdhsa_kernel _ZN2at6native12_GLOBAL__N_125multi_tensor_apply_kernelINS1_28TensorListScalarListMetadataIN3c107complexIdEELi3EEENS1_26TernaryOpScalarListFunctorIS6_Li3ELi2ELi2EEEJNS0_11LerpFunctorIS6_EEEEEvT_T0_DpT1_
		.amdhsa_group_segment_fixed_size 0
		.amdhsa_private_segment_fixed_size 0
		.amdhsa_kernarg_size 4168
		.amdhsa_user_sgpr_count 2
		.amdhsa_user_sgpr_dispatch_ptr 0
		.amdhsa_user_sgpr_queue_ptr 0
		.amdhsa_user_sgpr_kernarg_segment_ptr 1
		.amdhsa_user_sgpr_dispatch_id 0
		.amdhsa_user_sgpr_kernarg_preload_length 0
		.amdhsa_user_sgpr_kernarg_preload_offset 0
		.amdhsa_user_sgpr_private_segment_size 0
		.amdhsa_wavefront_size32 1
		.amdhsa_uses_dynamic_stack 0
		.amdhsa_enable_private_segment 0
		.amdhsa_system_sgpr_workgroup_id_x 1
		.amdhsa_system_sgpr_workgroup_id_y 0
		.amdhsa_system_sgpr_workgroup_id_z 0
		.amdhsa_system_sgpr_workgroup_info 0
		.amdhsa_system_vgpr_workitem_id 0
		.amdhsa_next_free_vgpr 58
		.amdhsa_next_free_sgpr 28
		.amdhsa_named_barrier_count 0
		.amdhsa_reserve_vcc 1
		.amdhsa_float_round_mode_32 0
		.amdhsa_float_round_mode_16_64 0
		.amdhsa_float_denorm_mode_32 3
		.amdhsa_float_denorm_mode_16_64 3
		.amdhsa_fp16_overflow 0
		.amdhsa_memory_ordered 1
		.amdhsa_forward_progress 1
		.amdhsa_inst_pref_size 19
		.amdhsa_round_robin_scheduling 0
		.amdhsa_exception_fp_ieee_invalid_op 0
		.amdhsa_exception_fp_denorm_src 0
		.amdhsa_exception_fp_ieee_div_zero 0
		.amdhsa_exception_fp_ieee_overflow 0
		.amdhsa_exception_fp_ieee_underflow 0
		.amdhsa_exception_fp_ieee_inexact 0
		.amdhsa_exception_int_div_zero 0
	.end_amdhsa_kernel
	.section	.text._ZN2at6native12_GLOBAL__N_125multi_tensor_apply_kernelINS1_28TensorListScalarListMetadataIN3c107complexIdEELi3EEENS1_26TernaryOpScalarListFunctorIS6_Li3ELi2ELi2EEEJNS0_11LerpFunctorIS6_EEEEEvT_T0_DpT1_,"axG",@progbits,_ZN2at6native12_GLOBAL__N_125multi_tensor_apply_kernelINS1_28TensorListScalarListMetadataIN3c107complexIdEELi3EEENS1_26TernaryOpScalarListFunctorIS6_Li3ELi2ELi2EEEJNS0_11LerpFunctorIS6_EEEEEvT_T0_DpT1_,comdat
.Lfunc_end26:
	.size	_ZN2at6native12_GLOBAL__N_125multi_tensor_apply_kernelINS1_28TensorListScalarListMetadataIN3c107complexIdEELi3EEENS1_26TernaryOpScalarListFunctorIS6_Li3ELi2ELi2EEEJNS0_11LerpFunctorIS6_EEEEEvT_T0_DpT1_, .Lfunc_end26-_ZN2at6native12_GLOBAL__N_125multi_tensor_apply_kernelINS1_28TensorListScalarListMetadataIN3c107complexIdEELi3EEENS1_26TernaryOpScalarListFunctorIS6_Li3ELi2ELi2EEEJNS0_11LerpFunctorIS6_EEEEEvT_T0_DpT1_
                                        ; -- End function
	.set _ZN2at6native12_GLOBAL__N_125multi_tensor_apply_kernelINS1_28TensorListScalarListMetadataIN3c107complexIdEELi3EEENS1_26TernaryOpScalarListFunctorIS6_Li3ELi2ELi2EEEJNS0_11LerpFunctorIS6_EEEEEvT_T0_DpT1_.num_vgpr, 58
	.set _ZN2at6native12_GLOBAL__N_125multi_tensor_apply_kernelINS1_28TensorListScalarListMetadataIN3c107complexIdEELi3EEENS1_26TernaryOpScalarListFunctorIS6_Li3ELi2ELi2EEEJNS0_11LerpFunctorIS6_EEEEEvT_T0_DpT1_.num_agpr, 0
	.set _ZN2at6native12_GLOBAL__N_125multi_tensor_apply_kernelINS1_28TensorListScalarListMetadataIN3c107complexIdEELi3EEENS1_26TernaryOpScalarListFunctorIS6_Li3ELi2ELi2EEEJNS0_11LerpFunctorIS6_EEEEEvT_T0_DpT1_.numbered_sgpr, 28
	.set _ZN2at6native12_GLOBAL__N_125multi_tensor_apply_kernelINS1_28TensorListScalarListMetadataIN3c107complexIdEELi3EEENS1_26TernaryOpScalarListFunctorIS6_Li3ELi2ELi2EEEJNS0_11LerpFunctorIS6_EEEEEvT_T0_DpT1_.num_named_barrier, 0
	.set _ZN2at6native12_GLOBAL__N_125multi_tensor_apply_kernelINS1_28TensorListScalarListMetadataIN3c107complexIdEELi3EEENS1_26TernaryOpScalarListFunctorIS6_Li3ELi2ELi2EEEJNS0_11LerpFunctorIS6_EEEEEvT_T0_DpT1_.private_seg_size, 0
	.set _ZN2at6native12_GLOBAL__N_125multi_tensor_apply_kernelINS1_28TensorListScalarListMetadataIN3c107complexIdEELi3EEENS1_26TernaryOpScalarListFunctorIS6_Li3ELi2ELi2EEEJNS0_11LerpFunctorIS6_EEEEEvT_T0_DpT1_.uses_vcc, 1
	.set _ZN2at6native12_GLOBAL__N_125multi_tensor_apply_kernelINS1_28TensorListScalarListMetadataIN3c107complexIdEELi3EEENS1_26TernaryOpScalarListFunctorIS6_Li3ELi2ELi2EEEJNS0_11LerpFunctorIS6_EEEEEvT_T0_DpT1_.uses_flat_scratch, 0
	.set _ZN2at6native12_GLOBAL__N_125multi_tensor_apply_kernelINS1_28TensorListScalarListMetadataIN3c107complexIdEELi3EEENS1_26TernaryOpScalarListFunctorIS6_Li3ELi2ELi2EEEJNS0_11LerpFunctorIS6_EEEEEvT_T0_DpT1_.has_dyn_sized_stack, 0
	.set _ZN2at6native12_GLOBAL__N_125multi_tensor_apply_kernelINS1_28TensorListScalarListMetadataIN3c107complexIdEELi3EEENS1_26TernaryOpScalarListFunctorIS6_Li3ELi2ELi2EEEJNS0_11LerpFunctorIS6_EEEEEvT_T0_DpT1_.has_recursion, 0
	.set _ZN2at6native12_GLOBAL__N_125multi_tensor_apply_kernelINS1_28TensorListScalarListMetadataIN3c107complexIdEELi3EEENS1_26TernaryOpScalarListFunctorIS6_Li3ELi2ELi2EEEJNS0_11LerpFunctorIS6_EEEEEvT_T0_DpT1_.has_indirect_call, 0
	.section	.AMDGPU.csdata,"",@progbits
; Kernel info:
; codeLenInByte = 2412
; TotalNumSgprs: 30
; NumVgprs: 58
; ScratchSize: 0
; MemoryBound: 1
; FloatMode: 240
; IeeeMode: 1
; LDSByteSize: 0 bytes/workgroup (compile time only)
; SGPRBlocks: 0
; VGPRBlocks: 3
; NumSGPRsForWavesPerEU: 30
; NumVGPRsForWavesPerEU: 58
; NamedBarCnt: 0
; Occupancy: 16
; WaveLimiterHint : 0
; COMPUTE_PGM_RSRC2:SCRATCH_EN: 0
; COMPUTE_PGM_RSRC2:USER_SGPR: 2
; COMPUTE_PGM_RSRC2:TRAP_HANDLER: 0
; COMPUTE_PGM_RSRC2:TGID_X_EN: 1
; COMPUTE_PGM_RSRC2:TGID_Y_EN: 0
; COMPUTE_PGM_RSRC2:TGID_Z_EN: 0
; COMPUTE_PGM_RSRC2:TIDIG_COMP_CNT: 0
	.section	.text._ZN2at6native12_GLOBAL__N_125multi_tensor_apply_kernelINS1_28TensorListScalarListMetadataIN3c107complexIfEELi3EEENS1_26TernaryOpScalarListFunctorIS6_Li3ELi2ELi2EEEJNS0_11LerpFunctorIS6_EEEEEvT_T0_DpT1_,"axG",@progbits,_ZN2at6native12_GLOBAL__N_125multi_tensor_apply_kernelINS1_28TensorListScalarListMetadataIN3c107complexIfEELi3EEENS1_26TernaryOpScalarListFunctorIS6_Li3ELi2ELi2EEEJNS0_11LerpFunctorIS6_EEEEEvT_T0_DpT1_,comdat
	.globl	_ZN2at6native12_GLOBAL__N_125multi_tensor_apply_kernelINS1_28TensorListScalarListMetadataIN3c107complexIfEELi3EEENS1_26TernaryOpScalarListFunctorIS6_Li3ELi2ELi2EEEJNS0_11LerpFunctorIS6_EEEEEvT_T0_DpT1_ ; -- Begin function _ZN2at6native12_GLOBAL__N_125multi_tensor_apply_kernelINS1_28TensorListScalarListMetadataIN3c107complexIfEELi3EEENS1_26TernaryOpScalarListFunctorIS6_Li3ELi2ELi2EEEJNS0_11LerpFunctorIS6_EEEEEvT_T0_DpT1_
	.p2align	8
	.type	_ZN2at6native12_GLOBAL__N_125multi_tensor_apply_kernelINS1_28TensorListScalarListMetadataIN3c107complexIfEELi3EEENS1_26TernaryOpScalarListFunctorIS6_Li3ELi2ELi2EEEJNS0_11LerpFunctorIS6_EEEEEvT_T0_DpT1_,@function
_ZN2at6native12_GLOBAL__N_125multi_tensor_apply_kernelINS1_28TensorListScalarListMetadataIN3c107complexIfEELi3EEENS1_26TernaryOpScalarListFunctorIS6_Li3ELi2ELi2EEEJNS0_11LerpFunctorIS6_EEEEEvT_T0_DpT1_: ; @_ZN2at6native12_GLOBAL__N_125multi_tensor_apply_kernelINS1_28TensorListScalarListMetadataIN3c107complexIfEELi3EEENS1_26TernaryOpScalarListFunctorIS6_Li3ELi2ELi2EEEJNS0_11LerpFunctorIS6_EEEEEvT_T0_DpT1_
; %bb.0:
	s_bfe_u32 s2, ttmp6, 0x4000c
	s_and_b32 s3, ttmp6, 15
	s_add_co_i32 s2, s2, 1
	s_getreg_b32 s4, hwreg(HW_REG_IB_STS2, 6, 4)
	s_mul_i32 s2, ttmp9, s2
	s_delay_alu instid0(SALU_CYCLE_1)
	s_add_co_i32 s3, s3, s2
	s_cmp_eq_u32 s4, 0
	s_cselect_b32 s2, ttmp9, s3
	s_mov_b32 s3, 0
	s_load_u8 s11, s[0:1], s2 offset:0x780
	s_add_nc_u64 s[4:5], s[0:1], s[2:3]
	s_mul_u64 s[6:7], s[2:3], 3
	s_delay_alu instid0(SALU_CYCLE_1)
	s_add_nc_u64 s[8:9], s[4:5], s[6:7]
	s_load_b32 s10, s[8:9], 0x8c0
	s_wait_kmcnt 0x0
	s_clause 0x4
	s_load_b64 s[4:5], s[0:1], s11 offset:0x180 scale_offset
	s_load_b64 s[18:19], s[0:1], s11 offset:0x300 scale_offset
	;; [unrolled: 1-line block ×5, first 2 shown]
	s_wait_xcnt 0x0
	s_ashr_i32 s11, s10, 31
	s_delay_alu instid0(SALU_CYCLE_1)
	s_lshl_b64 s[8:9], s[10:11], 19
	s_lshl_b64 s[10:11], s[10:11], 16
	s_wait_kmcnt 0x0
	s_add_nc_u64 s[12:13], s[4:5], s[8:9]
	s_add_nc_u64 s[14:15], s[18:19], s[8:9]
	;; [unrolled: 1-line block ×3, first 2 shown]
	s_or_b32 s2, s14, s12
	s_and_b64 s[24:25], s[16:17], 31
	s_and_b32 s2, s2, 31
	s_sub_nc_u64 s[10:11], s[22:23], s[10:11]
	s_cmp_lg_u32 s2, 0
	s_cselect_b32 s26, -1, 0
	s_and_b32 s2, s22, 3
	s_delay_alu instid0(SALU_CYCLE_1) | instskip(NEXT) | instid1(SALU_CYCLE_1)
	s_or_b64 s[2:3], s[24:25], s[2:3]
	s_cmp_lg_u64 s[2:3], 0
	s_cselect_b32 s2, -1, 0
	s_delay_alu instid0(SALU_CYCLE_1) | instskip(NEXT) | instid1(SALU_CYCLE_1)
	s_or_b32 s2, s26, s2
	s_and_not1_b32 vcc_lo, exec_lo, s2
	s_mov_b32 s2, -1
	s_cbranch_vccz .LBB27_21
; %bb.1:
	v_min_i64 v[22:23], 0x10000, s[10:11]
	v_dual_mov_b32 v25, 0 :: v_dual_lshlrev_b32 v24, 2, v0
	s_mov_b32 s3, exec_lo
	s_delay_alu instid0(VALU_DEP_1)
	v_cmpx_lt_i64_e64 v[24:25], v[22:23]
	s_cbranch_execz .LBB27_20
; %bb.2:
	s_load_b32 s22, s[0:1], 0xdd4
	v_mov_b64_e32 v[2:3], s[6:7]
	s_mov_b32 s23, 0
	s_mov_b32 s24, s7
	;; [unrolled: 1-line block ×5, first 2 shown]
	s_delay_alu instid0(VALU_DEP_1) | instskip(SKIP_2) | instid1(VALU_DEP_3)
	v_pk_mul_f32 v[4:5], v[2:3], v[2:3]
	v_mov_b32_e32 v1, v25
	v_pk_add_f32 v[26:27], v[2:3], 1.0 neg_lo:[1,0] neg_hi:[1,0]
	v_dual_lshlrev_b32 v24, 5, v0 :: v_dual_add_f32 v2, v4, v5
	s_delay_alu instid0(VALU_DEP_3) | instskip(NEXT) | instid1(VALU_DEP_3)
	v_mov_b64_e32 v[28:29], v[0:1]
	v_dual_mov_b32 v30, v27 :: v_dual_mov_b32 v31, v26
	s_delay_alu instid0(VALU_DEP_3) | instskip(SKIP_2) | instid1(SALU_CYCLE_1)
	v_cmp_ngt_f32_e64 s2, 0x3e800000, v2
	s_wait_kmcnt 0x0
	s_and_b32 s22, s22, 0xffff
	s_lshl_b32 s26, s22, 5
	s_branch .LBB27_4
.LBB27_3:                               ;   in Loop: Header=BB27_4 Depth=1
	v_add_nc_u64_e32 v[28:29], s[22:23], v[28:29]
	s_add_nc_u64 s[16:17], s[16:17], s[26:27]
	s_add_nc_u64 s[12:13], s[12:13], s[26:27]
	s_delay_alu instid0(VALU_DEP_1) | instskip(NEXT) | instid1(VALU_DEP_1)
	v_lshlrev_b64_e32 v[2:3], 2, v[28:29]
	v_cmp_ge_i64_e32 vcc_lo, v[2:3], v[22:23]
	v_add_nc_u64_e32 v[2:3], s[14:15], v[24:25]
	s_add_nc_u64 s[14:15], s[14:15], s[26:27]
	s_clause 0x1
	global_store_b128 v[2:3], v[6:9], off
	global_store_b128 v[2:3], v[14:17], off offset:16
	s_or_b32 s28, vcc_lo, s28
	s_wait_xcnt 0x0
	s_and_not1_b32 exec_lo, exec_lo, s28
	s_cbranch_execz .LBB27_20
.LBB27_4:                               ; =>This Inner Loop Header: Depth=1
	v_add_nc_u64_e32 v[6:7], s[12:13], v[24:25]
	v_add_nc_u64_e32 v[8:9], s[16:17], v[24:25]
	s_and_b32 vcc_lo, exec_lo, s2
	s_mov_b32 s29, -1
	global_load_b128 v[18:21], v[6:7], off
	s_clause 0x1
	global_load_b128 v[14:17], v[8:9], off
	global_load_b128 v[2:5], v[8:9], off offset:16
	global_load_b128 v[10:13], v[6:7], off offset:16
                                        ; implicit-def: $vgpr6_vgpr7
	s_wait_loadcnt 0x2
	s_wait_xcnt 0x1
	v_pk_add_f32 v[8:9], v[18:19], v[14:15] neg_lo:[0,1] neg_hi:[0,1]
	s_cbranch_vccz .LBB27_8
; %bb.5:                                ;   in Loop: Header=BB27_4 Depth=1
	s_wait_xcnt 0x0
	s_delay_alu instid0(VALU_DEP_1) | instskip(NEXT) | instid1(VALU_DEP_1)
	v_pk_mul_f32 v[6:7], v[30:31], v[8:9] op_sel:[0,1]
	v_pk_fma_f32 v[32:33], v[26:27], v[8:9], v[6:7] op_sel_hi:[1,0,1]
	v_pk_fma_f32 v[6:7], v[26:27], v[8:9], v[6:7] neg_lo:[0,0,1] neg_hi:[0,0,1]
	s_delay_alu instid0(VALU_DEP_2) | instskip(NEXT) | instid1(VALU_DEP_1)
	v_mov_b32_e32 v7, v33
	v_pk_add_f32 v[6:7], v[18:19], v[6:7] neg_lo:[0,1] neg_hi:[0,1]
	s_cbranch_execz .LBB27_9
.LBB27_6:                               ;   in Loop: Header=BB27_4 Depth=1
	v_pk_add_f32 v[14:15], v[20:21], v[16:17] neg_lo:[0,1] neg_hi:[0,1]
	s_and_not1_b32 vcc_lo, exec_lo, s2
	s_mov_b32 s29, -1
	s_cbranch_vccnz .LBB27_10
.LBB27_7:                               ;   in Loop: Header=BB27_4 Depth=1
	s_delay_alu instid0(VALU_DEP_1) | instskip(NEXT) | instid1(VALU_DEP_1)
	v_pk_mul_f32 v[8:9], v[30:31], v[14:15] op_sel:[0,1]
	v_pk_fma_f32 v[18:19], v[26:27], v[14:15], v[8:9] op_sel_hi:[1,0,1]
	v_pk_fma_f32 v[8:9], v[26:27], v[14:15], v[8:9] neg_lo:[0,0,1] neg_hi:[0,0,1]
	s_delay_alu instid0(VALU_DEP_2) | instskip(NEXT) | instid1(VALU_DEP_1)
	v_mov_b32_e32 v9, v19
	v_pk_add_f32 v[8:9], v[20:21], v[8:9] neg_lo:[0,1] neg_hi:[0,1]
	s_cbranch_execnz .LBB27_12
	s_branch .LBB27_11
.LBB27_8:                               ;   in Loop: Header=BB27_4 Depth=1
	s_and_not1_b32 vcc_lo, exec_lo, s29
	s_cbranch_vccnz .LBB27_6
.LBB27_9:                               ;   in Loop: Header=BB27_4 Depth=1
	s_wait_xcnt 0x0
	v_mov_b64_e32 v[6:7], s[24:25]
	v_mov_b64_e32 v[18:19], s[6:7]
	s_delay_alu instid0(VALU_DEP_2) | instskip(NEXT) | instid1(VALU_DEP_1)
	v_pk_mul_f32 v[6:7], v[8:9], v[6:7] op_sel:[1,0]
	v_pk_fma_f32 v[32:33], v[8:9], v[18:19], v[6:7] op_sel_hi:[0,1,1]
	v_pk_fma_f32 v[6:7], v[8:9], v[18:19], v[6:7] neg_lo:[0,0,1] neg_hi:[0,0,1]
	s_delay_alu instid0(VALU_DEP_2) | instskip(NEXT) | instid1(VALU_DEP_1)
	v_mov_b32_e32 v7, v33
	v_pk_add_f32 v[6:7], v[14:15], v[6:7]
	v_pk_add_f32 v[14:15], v[20:21], v[16:17] neg_lo:[0,1] neg_hi:[0,1]
	s_and_not1_b32 vcc_lo, exec_lo, s2
	s_mov_b32 s29, -1
	s_cbranch_vccz .LBB27_7
.LBB27_10:                              ;   in Loop: Header=BB27_4 Depth=1
	s_and_not1_b32 vcc_lo, exec_lo, s29
	s_cbranch_vccnz .LBB27_12
.LBB27_11:                              ;   in Loop: Header=BB27_4 Depth=1
	v_mov_b64_e32 v[8:9], s[24:25]
	v_mov_b64_e32 v[18:19], s[6:7]
	s_delay_alu instid0(VALU_DEP_2) | instskip(NEXT) | instid1(VALU_DEP_1)
	v_pk_mul_f32 v[8:9], v[14:15], v[8:9] op_sel:[1,0]
	v_pk_fma_f32 v[20:21], v[14:15], v[18:19], v[8:9] op_sel_hi:[0,1,1]
	v_pk_fma_f32 v[8:9], v[14:15], v[18:19], v[8:9] neg_lo:[0,0,1] neg_hi:[0,0,1]
	s_delay_alu instid0(VALU_DEP_2) | instskip(NEXT) | instid1(VALU_DEP_1)
	v_mov_b32_e32 v9, v21
	v_pk_add_f32 v[8:9], v[16:17], v[8:9]
.LBB27_12:                              ;   in Loop: Header=BB27_4 Depth=1
	s_wait_loadcnt 0x0
	v_pk_add_f32 v[16:17], v[10:11], v[2:3] neg_lo:[0,1] neg_hi:[0,1]
	s_and_not1_b32 vcc_lo, exec_lo, s2
	s_mov_b32 s29, -1
                                        ; implicit-def: $vgpr14_vgpr15
	s_cbranch_vccnz .LBB27_16
; %bb.13:                               ;   in Loop: Header=BB27_4 Depth=1
	s_delay_alu instid0(VALU_DEP_1) | instskip(NEXT) | instid1(VALU_DEP_1)
	v_pk_mul_f32 v[14:15], v[30:31], v[16:17] op_sel:[0,1]
	v_pk_fma_f32 v[18:19], v[26:27], v[16:17], v[14:15] op_sel_hi:[1,0,1]
	v_pk_fma_f32 v[14:15], v[26:27], v[16:17], v[14:15] neg_lo:[0,0,1] neg_hi:[0,0,1]
	s_delay_alu instid0(VALU_DEP_2) | instskip(NEXT) | instid1(VALU_DEP_1)
	v_mov_b32_e32 v15, v19
	v_pk_add_f32 v[14:15], v[10:11], v[14:15] neg_lo:[0,1] neg_hi:[0,1]
	s_cbranch_execz .LBB27_17
.LBB27_14:                              ;   in Loop: Header=BB27_4 Depth=1
	v_pk_add_f32 v[2:3], v[12:13], v[4:5] neg_lo:[0,1] neg_hi:[0,1]
	s_and_not1_b32 vcc_lo, exec_lo, s2
	s_mov_b32 s29, -1
	s_cbranch_vccnz .LBB27_18
.LBB27_15:                              ;   in Loop: Header=BB27_4 Depth=1
	s_delay_alu instid0(VALU_DEP_1) | instskip(NEXT) | instid1(VALU_DEP_1)
	v_pk_mul_f32 v[10:11], v[30:31], v[2:3] op_sel:[0,1]
	v_pk_fma_f32 v[16:17], v[26:27], v[2:3], v[10:11] op_sel_hi:[1,0,1]
	v_pk_fma_f32 v[10:11], v[26:27], v[2:3], v[10:11] neg_lo:[0,0,1] neg_hi:[0,0,1]
	s_delay_alu instid0(VALU_DEP_2) | instskip(NEXT) | instid1(VALU_DEP_1)
	v_mov_b32_e32 v11, v17
	v_pk_add_f32 v[16:17], v[12:13], v[10:11] neg_lo:[0,1] neg_hi:[0,1]
	s_cbranch_execnz .LBB27_3
	s_branch .LBB27_19
.LBB27_16:                              ;   in Loop: Header=BB27_4 Depth=1
	s_and_not1_b32 vcc_lo, exec_lo, s29
	s_cbranch_vccnz .LBB27_14
.LBB27_17:                              ;   in Loop: Header=BB27_4 Depth=1
	v_mov_b64_e32 v[10:11], s[24:25]
	v_mov_b64_e32 v[14:15], s[6:7]
	s_delay_alu instid0(VALU_DEP_2) | instskip(NEXT) | instid1(VALU_DEP_1)
	v_pk_mul_f32 v[10:11], v[16:17], v[10:11] op_sel:[1,0]
	v_pk_fma_f32 v[18:19], v[16:17], v[14:15], v[10:11] op_sel_hi:[0,1,1]
	v_pk_fma_f32 v[10:11], v[16:17], v[14:15], v[10:11] neg_lo:[0,0,1] neg_hi:[0,0,1]
	s_delay_alu instid0(VALU_DEP_2) | instskip(NEXT) | instid1(VALU_DEP_1)
	v_mov_b32_e32 v11, v19
	v_pk_add_f32 v[14:15], v[2:3], v[10:11]
	v_pk_add_f32 v[2:3], v[12:13], v[4:5] neg_lo:[0,1] neg_hi:[0,1]
	s_and_not1_b32 vcc_lo, exec_lo, s2
	s_mov_b32 s29, -1
	s_cbranch_vccz .LBB27_15
.LBB27_18:                              ;   in Loop: Header=BB27_4 Depth=1
	s_and_not1_b32 vcc_lo, exec_lo, s29
	s_cbranch_vccnz .LBB27_3
.LBB27_19:                              ;   in Loop: Header=BB27_4 Depth=1
	v_mov_b64_e32 v[10:11], s[24:25]
	v_mov_b64_e32 v[12:13], s[6:7]
	s_delay_alu instid0(VALU_DEP_2) | instskip(NEXT) | instid1(VALU_DEP_1)
	v_pk_mul_f32 v[10:11], v[2:3], v[10:11] op_sel:[1,0]
	v_pk_fma_f32 v[16:17], v[2:3], v[12:13], v[10:11] op_sel_hi:[0,1,1]
	v_pk_fma_f32 v[2:3], v[2:3], v[12:13], v[10:11] neg_lo:[0,0,1] neg_hi:[0,0,1]
	s_delay_alu instid0(VALU_DEP_2) | instskip(NEXT) | instid1(VALU_DEP_1)
	v_mov_b32_e32 v3, v17
	v_pk_add_f32 v[16:17], v[4:5], v[2:3]
	s_branch .LBB27_3
.LBB27_20:
	s_or_b32 exec_lo, exec_lo, s3
	s_mov_b32 s2, 0
.LBB27_21:
	s_delay_alu instid0(SALU_CYCLE_1)
	s_and_not1_b32 vcc_lo, exec_lo, s2
	s_cbranch_vccnz .LBB27_57
; %bb.22:
	v_cmp_lt_i64_e64 s2, s[10:11], 1
	s_and_b32 vcc_lo, exec_lo, s2
	s_cbranch_vccnz .LBB27_57
; %bb.23:
	s_load_b32 s0, s[0:1], 0xdd4
	v_mov_b64_e32 v[6:7], s[6:7]
	v_min_i64 v[2:3], 0x10000, s[10:11]
	v_min_u64 v[4:5], 0x10000, s[10:11]
	v_dual_mov_b32 v1, 0 :: v_dual_lshlrev_b32 v14, 3, v0
	s_mov_b32 s3, 0
	s_sub_f32 s10, 1.0, s6
	s_delay_alu instid0(VALU_DEP_4) | instskip(NEXT) | instid1(VALU_DEP_2)
	v_pk_mul_f32 v[6:7], v[6:7], v[6:7]
	v_mov_b32_e32 v15, v1
	s_mov_b32 s27, s3
	s_mov_b32 s23, s3
	;; [unrolled: 1-line block ×3, first 2 shown]
	v_add_f32_e32 v12, v6, v7
	v_add_nc_u64_e32 v[6:7], s[4:5], v[14:15]
	v_add_nc_u64_e32 v[8:9], s[20:21], v[14:15]
	;; [unrolled: 1-line block ×3, first 2 shown]
	s_sub_f32 s12, 0, s7
	s_mov_b32 s14, s6
	s_mov_b32 s15, s6
	s_wait_kmcnt 0x0
	s_and_b32 s2, s0, 0xffff
	v_cmp_ngt_f32_e64 s0, 0x3e800000, v12
	v_add_nc_u64_e32 v[12:13], s[2:3], v[0:1]
	v_mad_nc_u64_u32 v[18:19], s2, 24, v[14:15]
	s_lshl_b32 s26, s2, 4
	s_lshl_b32 s22, s2, 1
	v_add_nc_u64_e32 v[26:27], s[26:27], v[14:15]
	s_mul_i32 s24, s2, 3
	v_add_nc_u64_e32 v[28:29], s[22:23], v[0:1]
	v_dual_mov_b32 v35, v1 :: v_dual_lshlrev_b32 v34, 3, v12
	v_add_nc_u64_e32 v[20:21], s[24:25], v[0:1]
	s_mov_b32 s6, s7
	s_delay_alu instid0(VALU_DEP_4)
	v_add_nc_u64_e32 v[22:23], s[4:5], v[26:27]
	v_add_nc_u64_e32 v[14:15], s[4:5], v[18:19]
	;; [unrolled: 1-line block ×9, first 2 shown]
	s_mov_b32 s17, s3
	s_lshl_b32 s16, s2, 2
	s_mov_b32 s11, s10
	s_mov_b32 s13, s12
	s_lshl_b32 s18, s2, 5
	s_mov_b32 s19, s3
	s_mov_b64 s[20:21], 0
	s_branch .LBB27_25
.LBB27_24:                              ;   in Loop: Header=BB27_25 Depth=1
	s_wait_xcnt 0x0
	s_or_b32 exec_lo, exec_lo, s1
	s_add_nc_u64 s[20:21], s[20:21], s[16:17]
	v_add_nc_u64_e32 v[6:7], s[18:19], v[6:7]
	v_cmp_ge_i64_e32 vcc_lo, s[20:21], v[2:3]
	v_add_nc_u64_e32 v[8:9], s[18:19], v[8:9]
	v_add_nc_u64_e32 v[10:11], s[18:19], v[10:11]
	;; [unrolled: 1-line block ×11, first 2 shown]
	s_cbranch_vccnz .LBB27_57
.LBB27_25:                              ; =>This Inner Loop Header: Depth=1
	v_add_nc_u64_e32 v[36:37], s[20:21], v[0:1]
	v_dual_mov_b32 v48, 0 :: v_dual_mov_b32 v49, 0
	v_dual_mov_b32 v52, 0 :: v_dual_mov_b32 v53, 0
	s_delay_alu instid0(VALU_DEP_3)
	v_cmp_lt_u64_e64 s1, v[36:37], v[4:5]
	s_and_saveexec_b32 s2, s1
	s_cbranch_execz .LBB27_27
; %bb.26:                               ;   in Loop: Header=BB27_25 Depth=1
	v_add_nc_u64_e32 v[36:37], s[8:9], v[8:9]
	v_add_nc_u64_e32 v[38:39], s[8:9], v[6:7]
	global_load_b64 v[48:49], v[36:37], off
	global_load_b64 v[52:53], v[38:39], off
.LBB27_27:                              ;   in Loop: Header=BB27_25 Depth=1
	s_wait_xcnt 0x0
	s_or_b32 exec_lo, exec_lo, s2
	v_add_nc_u64_e32 v[38:39], s[20:21], v[12:13]
	v_dual_mov_b32 v36, 0 :: v_dual_mov_b32 v42, 0
	v_dual_mov_b32 v43, 0 :: v_dual_mov_b32 v50, 0
	v_mov_b32_e32 v51, 0
	s_delay_alu instid0(VALU_DEP_4)
	v_cmp_lt_u64_e64 s2, v[38:39], v[4:5]
	s_and_saveexec_b32 s3, s2
	s_cbranch_execz .LBB27_29
; %bb.28:                               ;   in Loop: Header=BB27_25 Depth=1
	v_add_nc_u64_e32 v[38:39], s[8:9], v[32:33]
	v_add_nc_u64_e32 v[40:41], s[8:9], v[30:31]
	global_load_b64 v[42:43], v[38:39], off
	global_load_b64 v[50:51], v[40:41], off
.LBB27_29:                              ;   in Loop: Header=BB27_25 Depth=1
	s_wait_xcnt 0x0
	s_or_b32 exec_lo, exec_lo, s3
	v_add_nc_u64_e32 v[38:39], s[20:21], v[28:29]
	v_dual_mov_b32 v37, 0 :: v_dual_mov_b32 v44, 0
	v_mov_b32_e32 v45, 0
	s_delay_alu instid0(VALU_DEP_3)
	v_cmp_lt_u64_e64 s3, v[38:39], v[4:5]
	s_and_saveexec_b32 s4, s3
	s_cbranch_execz .LBB27_31
; %bb.30:                               ;   in Loop: Header=BB27_25 Depth=1
	v_add_nc_u64_e32 v[38:39], s[8:9], v[24:25]
	v_add_nc_u64_e32 v[40:41], s[8:9], v[22:23]
	global_load_b64 v[36:37], v[38:39], off
	global_load_b64 v[44:45], v[40:41], off
.LBB27_31:                              ;   in Loop: Header=BB27_25 Depth=1
	s_wait_xcnt 0x0
	s_or_b32 exec_lo, exec_lo, s4
	v_add_nc_u64_e32 v[40:41], s[20:21], v[20:21]
	v_mov_b32_e32 v38, 0
	s_delay_alu instid0(VALU_DEP_1) | instskip(NEXT) | instid1(VALU_DEP_3)
	v_mov_b32_e32 v39, v38
	v_cmp_lt_u64_e64 s4, v[40:41], v[4:5]
	v_dual_mov_b32 v40, v38 :: v_dual_mov_b32 v41, v38
	s_and_saveexec_b32 s5, s4
	s_cbranch_execz .LBB27_33
; %bb.32:                               ;   in Loop: Header=BB27_25 Depth=1
	v_add_nc_u64_e32 v[46:47], s[8:9], v[16:17]
	v_add_nc_u64_e32 v[54:55], s[8:9], v[14:15]
	global_load_b64 v[38:39], v[46:47], off
	global_load_b64 v[40:41], v[54:55], off
.LBB27_33:                              ;   in Loop: Header=BB27_25 Depth=1
	s_wait_xcnt 0x0
	s_or_b32 exec_lo, exec_lo, s5
	s_wait_loadcnt 0x0
	v_pk_add_f32 v[54:55], v[52:53], v[48:49] neg_lo:[0,1] neg_hi:[0,1]
	s_and_b32 vcc_lo, exec_lo, s0
	s_mov_b32 s5, -1
                                        ; implicit-def: $vgpr46_vgpr47
	s_cbranch_vccz .LBB27_35
; %bb.34:                               ;   in Loop: Header=BB27_25 Depth=1
	v_mov_b64_e32 v[46:47], s[12:13]
	v_mov_b64_e32 v[56:57], s[10:11]
	s_delay_alu instid0(VALU_DEP_2) | instskip(NEXT) | instid1(VALU_DEP_1)
	v_pk_mul_f32 v[46:47], v[46:47], v[54:55] op_sel:[0,1] op_sel_hi:[1,0]
	v_pk_fma_f32 v[58:59], v[56:57], v[54:55], v[46:47]
	v_pk_fma_f32 v[46:47], v[56:57], v[54:55], v[46:47] neg_lo:[0,0,1] neg_hi:[0,0,1]
	s_delay_alu instid0(VALU_DEP_2) | instskip(NEXT) | instid1(VALU_DEP_1)
	v_mov_b32_e32 v47, v59
	v_pk_add_f32 v[46:47], v[52:53], v[46:47] neg_lo:[0,1] neg_hi:[0,1]
	s_cbranch_execnz .LBB27_37
	s_branch .LBB27_36
.LBB27_35:                              ;   in Loop: Header=BB27_25 Depth=1
	s_and_not1_b32 vcc_lo, exec_lo, s5
	s_cbranch_vccnz .LBB27_37
.LBB27_36:                              ;   in Loop: Header=BB27_25 Depth=1
	v_mov_b64_e32 v[46:47], s[6:7]
	v_mov_b64_e32 v[52:53], s[14:15]
	s_delay_alu instid0(VALU_DEP_2) | instskip(NEXT) | instid1(VALU_DEP_1)
	v_pk_mul_f32 v[46:47], v[54:55], v[46:47] op_sel:[1,0] op_sel_hi:[0,1]
	v_pk_fma_f32 v[56:57], v[54:55], v[52:53], v[46:47]
	v_pk_fma_f32 v[46:47], v[54:55], v[52:53], v[46:47] neg_lo:[0,0,1] neg_hi:[0,0,1]
	s_delay_alu instid0(VALU_DEP_2) | instskip(NEXT) | instid1(VALU_DEP_1)
	v_mov_b32_e32 v47, v57
	v_pk_add_f32 v[46:47], v[48:49], v[46:47]
.LBB27_37:                              ;   in Loop: Header=BB27_25 Depth=1
	v_pk_add_f32 v[52:53], v[50:51], v[42:43] neg_lo:[0,1] neg_hi:[0,1]
	s_and_not1_b32 vcc_lo, exec_lo, s0
	s_mov_b32 s5, -1
                                        ; implicit-def: $vgpr48_vgpr49
	s_cbranch_vccnz .LBB27_39
; %bb.38:                               ;   in Loop: Header=BB27_25 Depth=1
	v_mov_b64_e32 v[48:49], s[12:13]
	v_mov_b64_e32 v[54:55], s[10:11]
	s_delay_alu instid0(VALU_DEP_2) | instskip(NEXT) | instid1(VALU_DEP_1)
	v_pk_mul_f32 v[48:49], v[48:49], v[52:53] op_sel:[0,1] op_sel_hi:[1,0]
	v_pk_fma_f32 v[56:57], v[54:55], v[52:53], v[48:49]
	v_pk_fma_f32 v[48:49], v[54:55], v[52:53], v[48:49] neg_lo:[0,0,1] neg_hi:[0,0,1]
	s_delay_alu instid0(VALU_DEP_2) | instskip(NEXT) | instid1(VALU_DEP_1)
	v_mov_b32_e32 v49, v57
	v_pk_add_f32 v[48:49], v[50:51], v[48:49] neg_lo:[0,1] neg_hi:[0,1]
	s_cbranch_execnz .LBB27_41
	s_branch .LBB27_40
.LBB27_39:                              ;   in Loop: Header=BB27_25 Depth=1
	s_and_not1_b32 vcc_lo, exec_lo, s5
	s_cbranch_vccnz .LBB27_41
.LBB27_40:                              ;   in Loop: Header=BB27_25 Depth=1
	v_mov_b64_e32 v[48:49], s[6:7]
	v_mov_b64_e32 v[50:51], s[14:15]
	s_delay_alu instid0(VALU_DEP_2) | instskip(NEXT) | instid1(VALU_DEP_1)
	v_pk_mul_f32 v[48:49], v[52:53], v[48:49] op_sel:[1,0] op_sel_hi:[0,1]
	v_pk_fma_f32 v[54:55], v[52:53], v[50:51], v[48:49]
	v_pk_fma_f32 v[48:49], v[52:53], v[50:51], v[48:49] neg_lo:[0,0,1] neg_hi:[0,0,1]
	s_delay_alu instid0(VALU_DEP_2) | instskip(NEXT) | instid1(VALU_DEP_1)
	v_mov_b32_e32 v49, v55
	v_pk_add_f32 v[48:49], v[42:43], v[48:49]
.LBB27_41:                              ;   in Loop: Header=BB27_25 Depth=1
	v_pk_add_f32 v[50:51], v[44:45], v[36:37] neg_lo:[0,1] neg_hi:[0,1]
	s_and_not1_b32 vcc_lo, exec_lo, s0
	s_mov_b32 s5, -1
                                        ; implicit-def: $vgpr42_vgpr43
	s_cbranch_vccnz .LBB27_43
; %bb.42:                               ;   in Loop: Header=BB27_25 Depth=1
	v_mov_b64_e32 v[42:43], s[12:13]
	v_mov_b64_e32 v[52:53], s[10:11]
	s_delay_alu instid0(VALU_DEP_2) | instskip(NEXT) | instid1(VALU_DEP_1)
	v_pk_mul_f32 v[42:43], v[42:43], v[50:51] op_sel:[0,1] op_sel_hi:[1,0]
	v_pk_fma_f32 v[54:55], v[52:53], v[50:51], v[42:43]
	v_pk_fma_f32 v[42:43], v[52:53], v[50:51], v[42:43] neg_lo:[0,0,1] neg_hi:[0,0,1]
	s_delay_alu instid0(VALU_DEP_2) | instskip(NEXT) | instid1(VALU_DEP_1)
	v_mov_b32_e32 v43, v55
	v_pk_add_f32 v[42:43], v[44:45], v[42:43] neg_lo:[0,1] neg_hi:[0,1]
	s_cbranch_execnz .LBB27_45
	s_branch .LBB27_44
.LBB27_43:                              ;   in Loop: Header=BB27_25 Depth=1
	s_and_not1_b32 vcc_lo, exec_lo, s5
	s_cbranch_vccnz .LBB27_45
.LBB27_44:                              ;   in Loop: Header=BB27_25 Depth=1
	v_mov_b64_e32 v[42:43], s[6:7]
	v_mov_b64_e32 v[44:45], s[14:15]
	s_delay_alu instid0(VALU_DEP_2) | instskip(NEXT) | instid1(VALU_DEP_1)
	v_pk_mul_f32 v[42:43], v[50:51], v[42:43] op_sel:[1,0] op_sel_hi:[0,1]
	v_pk_fma_f32 v[52:53], v[50:51], v[44:45], v[42:43]
	v_pk_fma_f32 v[42:43], v[50:51], v[44:45], v[42:43] neg_lo:[0,0,1] neg_hi:[0,0,1]
	s_delay_alu instid0(VALU_DEP_2) | instskip(NEXT) | instid1(VALU_DEP_1)
	v_mov_b32_e32 v43, v53
	v_pk_add_f32 v[42:43], v[36:37], v[42:43]
.LBB27_45:                              ;   in Loop: Header=BB27_25 Depth=1
	v_pk_add_f32 v[44:45], v[40:41], v[38:39] neg_lo:[0,1] neg_hi:[0,1]
	s_and_not1_b32 vcc_lo, exec_lo, s0
	s_mov_b32 s5, -1
                                        ; implicit-def: $vgpr36_vgpr37
	s_cbranch_vccnz .LBB27_51
; %bb.46:                               ;   in Loop: Header=BB27_25 Depth=1
	v_mov_b64_e32 v[36:37], s[12:13]
	v_mov_b64_e32 v[50:51], s[10:11]
	s_delay_alu instid0(VALU_DEP_2) | instskip(NEXT) | instid1(VALU_DEP_1)
	v_pk_mul_f32 v[36:37], v[36:37], v[44:45] op_sel:[0,1] op_sel_hi:[1,0]
	v_pk_fma_f32 v[52:53], v[50:51], v[44:45], v[36:37]
	v_pk_fma_f32 v[36:37], v[50:51], v[44:45], v[36:37] neg_lo:[0,0,1] neg_hi:[0,0,1]
	s_delay_alu instid0(VALU_DEP_2) | instskip(NEXT) | instid1(VALU_DEP_1)
	v_mov_b32_e32 v37, v53
	v_pk_add_f32 v[36:37], v[40:41], v[36:37] neg_lo:[0,1] neg_hi:[0,1]
	s_cbranch_execz .LBB27_52
.LBB27_47:                              ;   in Loop: Header=BB27_25 Depth=1
	s_and_saveexec_b32 s5, s1
	s_delay_alu instid0(SALU_CYCLE_1)
	s_xor_b32 s1, exec_lo, s5
	s_cbranch_execz .LBB27_53
.LBB27_48:                              ;   in Loop: Header=BB27_25 Depth=1
	v_add_nc_u64_e32 v[38:39], s[8:9], v[10:11]
	global_store_b64 v[38:39], v[46:47], off
	s_wait_xcnt 0x0
	s_or_b32 exec_lo, exec_lo, s1
	s_and_saveexec_b32 s1, s2
	s_cbranch_execnz .LBB27_54
.LBB27_49:                              ;   in Loop: Header=BB27_25 Depth=1
	s_or_b32 exec_lo, exec_lo, s1
	s_and_saveexec_b32 s1, s3
	s_cbranch_execz .LBB27_55
.LBB27_50:                              ;   in Loop: Header=BB27_25 Depth=1
	v_add_nc_u64_e32 v[38:39], s[8:9], v[26:27]
	global_store_b64 v[38:39], v[42:43], off
	s_wait_xcnt 0x0
	s_or_b32 exec_lo, exec_lo, s1
	s_and_saveexec_b32 s1, s4
	s_cbranch_execz .LBB27_24
	s_branch .LBB27_56
.LBB27_51:                              ;   in Loop: Header=BB27_25 Depth=1
	s_and_not1_b32 vcc_lo, exec_lo, s5
	s_cbranch_vccnz .LBB27_47
.LBB27_52:                              ;   in Loop: Header=BB27_25 Depth=1
	v_mov_b64_e32 v[36:37], s[6:7]
	v_mov_b64_e32 v[40:41], s[14:15]
	s_delay_alu instid0(VALU_DEP_2) | instskip(NEXT) | instid1(VALU_DEP_1)
	v_pk_mul_f32 v[36:37], v[44:45], v[36:37] op_sel:[1,0] op_sel_hi:[0,1]
	v_pk_fma_f32 v[50:51], v[44:45], v[40:41], v[36:37]
	v_pk_fma_f32 v[36:37], v[44:45], v[40:41], v[36:37] neg_lo:[0,0,1] neg_hi:[0,0,1]
	s_delay_alu instid0(VALU_DEP_2) | instskip(NEXT) | instid1(VALU_DEP_1)
	v_mov_b32_e32 v37, v51
	v_pk_add_f32 v[36:37], v[38:39], v[36:37]
	s_and_saveexec_b32 s5, s1
	s_delay_alu instid0(SALU_CYCLE_1)
	s_xor_b32 s1, exec_lo, s5
	s_cbranch_execnz .LBB27_48
.LBB27_53:                              ;   in Loop: Header=BB27_25 Depth=1
	s_or_b32 exec_lo, exec_lo, s1
	s_and_saveexec_b32 s1, s2
	s_cbranch_execz .LBB27_49
.LBB27_54:                              ;   in Loop: Header=BB27_25 Depth=1
	v_add_nc_u64_e32 v[38:39], s[8:9], v[34:35]
	global_store_b64 v[38:39], v[48:49], off
	s_wait_xcnt 0x0
	s_or_b32 exec_lo, exec_lo, s1
	s_and_saveexec_b32 s1, s3
	s_cbranch_execnz .LBB27_50
.LBB27_55:                              ;   in Loop: Header=BB27_25 Depth=1
	s_or_b32 exec_lo, exec_lo, s1
	s_and_saveexec_b32 s1, s4
	s_cbranch_execz .LBB27_24
.LBB27_56:                              ;   in Loop: Header=BB27_25 Depth=1
	v_add_nc_u64_e32 v[38:39], s[8:9], v[18:19]
	global_store_b64 v[38:39], v[36:37], off
	s_branch .LBB27_24
.LBB27_57:
	s_endpgm
	.section	.rodata,"a",@progbits
	.p2align	6, 0x0
	.amdhsa_kernel _ZN2at6native12_GLOBAL__N_125multi_tensor_apply_kernelINS1_28TensorListScalarListMetadataIN3c107complexIfEELi3EEENS1_26TernaryOpScalarListFunctorIS6_Li3ELi2ELi2EEEJNS0_11LerpFunctorIS6_EEEEEvT_T0_DpT1_
		.amdhsa_group_segment_fixed_size 0
		.amdhsa_private_segment_fixed_size 0
		.amdhsa_kernarg_size 3784
		.amdhsa_user_sgpr_count 2
		.amdhsa_user_sgpr_dispatch_ptr 0
		.amdhsa_user_sgpr_queue_ptr 0
		.amdhsa_user_sgpr_kernarg_segment_ptr 1
		.amdhsa_user_sgpr_dispatch_id 0
		.amdhsa_user_sgpr_kernarg_preload_length 0
		.amdhsa_user_sgpr_kernarg_preload_offset 0
		.amdhsa_user_sgpr_private_segment_size 0
		.amdhsa_wavefront_size32 1
		.amdhsa_uses_dynamic_stack 0
		.amdhsa_enable_private_segment 0
		.amdhsa_system_sgpr_workgroup_id_x 1
		.amdhsa_system_sgpr_workgroup_id_y 0
		.amdhsa_system_sgpr_workgroup_id_z 0
		.amdhsa_system_sgpr_workgroup_info 0
		.amdhsa_system_vgpr_workitem_id 0
		.amdhsa_next_free_vgpr 60
		.amdhsa_next_free_sgpr 30
		.amdhsa_named_barrier_count 0
		.amdhsa_reserve_vcc 1
		.amdhsa_float_round_mode_32 0
		.amdhsa_float_round_mode_16_64 0
		.amdhsa_float_denorm_mode_32 3
		.amdhsa_float_denorm_mode_16_64 3
		.amdhsa_fp16_overflow 0
		.amdhsa_memory_ordered 1
		.amdhsa_forward_progress 1
		.amdhsa_inst_pref_size 20
		.amdhsa_round_robin_scheduling 0
		.amdhsa_exception_fp_ieee_invalid_op 0
		.amdhsa_exception_fp_denorm_src 0
		.amdhsa_exception_fp_ieee_div_zero 0
		.amdhsa_exception_fp_ieee_overflow 0
		.amdhsa_exception_fp_ieee_underflow 0
		.amdhsa_exception_fp_ieee_inexact 0
		.amdhsa_exception_int_div_zero 0
	.end_amdhsa_kernel
	.section	.text._ZN2at6native12_GLOBAL__N_125multi_tensor_apply_kernelINS1_28TensorListScalarListMetadataIN3c107complexIfEELi3EEENS1_26TernaryOpScalarListFunctorIS6_Li3ELi2ELi2EEEJNS0_11LerpFunctorIS6_EEEEEvT_T0_DpT1_,"axG",@progbits,_ZN2at6native12_GLOBAL__N_125multi_tensor_apply_kernelINS1_28TensorListScalarListMetadataIN3c107complexIfEELi3EEENS1_26TernaryOpScalarListFunctorIS6_Li3ELi2ELi2EEEJNS0_11LerpFunctorIS6_EEEEEvT_T0_DpT1_,comdat
.Lfunc_end27:
	.size	_ZN2at6native12_GLOBAL__N_125multi_tensor_apply_kernelINS1_28TensorListScalarListMetadataIN3c107complexIfEELi3EEENS1_26TernaryOpScalarListFunctorIS6_Li3ELi2ELi2EEEJNS0_11LerpFunctorIS6_EEEEEvT_T0_DpT1_, .Lfunc_end27-_ZN2at6native12_GLOBAL__N_125multi_tensor_apply_kernelINS1_28TensorListScalarListMetadataIN3c107complexIfEELi3EEENS1_26TernaryOpScalarListFunctorIS6_Li3ELi2ELi2EEEJNS0_11LerpFunctorIS6_EEEEEvT_T0_DpT1_
                                        ; -- End function
	.set _ZN2at6native12_GLOBAL__N_125multi_tensor_apply_kernelINS1_28TensorListScalarListMetadataIN3c107complexIfEELi3EEENS1_26TernaryOpScalarListFunctorIS6_Li3ELi2ELi2EEEJNS0_11LerpFunctorIS6_EEEEEvT_T0_DpT1_.num_vgpr, 60
	.set _ZN2at6native12_GLOBAL__N_125multi_tensor_apply_kernelINS1_28TensorListScalarListMetadataIN3c107complexIfEELi3EEENS1_26TernaryOpScalarListFunctorIS6_Li3ELi2ELi2EEEJNS0_11LerpFunctorIS6_EEEEEvT_T0_DpT1_.num_agpr, 0
	.set _ZN2at6native12_GLOBAL__N_125multi_tensor_apply_kernelINS1_28TensorListScalarListMetadataIN3c107complexIfEELi3EEENS1_26TernaryOpScalarListFunctorIS6_Li3ELi2ELi2EEEJNS0_11LerpFunctorIS6_EEEEEvT_T0_DpT1_.numbered_sgpr, 30
	.set _ZN2at6native12_GLOBAL__N_125multi_tensor_apply_kernelINS1_28TensorListScalarListMetadataIN3c107complexIfEELi3EEENS1_26TernaryOpScalarListFunctorIS6_Li3ELi2ELi2EEEJNS0_11LerpFunctorIS6_EEEEEvT_T0_DpT1_.num_named_barrier, 0
	.set _ZN2at6native12_GLOBAL__N_125multi_tensor_apply_kernelINS1_28TensorListScalarListMetadataIN3c107complexIfEELi3EEENS1_26TernaryOpScalarListFunctorIS6_Li3ELi2ELi2EEEJNS0_11LerpFunctorIS6_EEEEEvT_T0_DpT1_.private_seg_size, 0
	.set _ZN2at6native12_GLOBAL__N_125multi_tensor_apply_kernelINS1_28TensorListScalarListMetadataIN3c107complexIfEELi3EEENS1_26TernaryOpScalarListFunctorIS6_Li3ELi2ELi2EEEJNS0_11LerpFunctorIS6_EEEEEvT_T0_DpT1_.uses_vcc, 1
	.set _ZN2at6native12_GLOBAL__N_125multi_tensor_apply_kernelINS1_28TensorListScalarListMetadataIN3c107complexIfEELi3EEENS1_26TernaryOpScalarListFunctorIS6_Li3ELi2ELi2EEEJNS0_11LerpFunctorIS6_EEEEEvT_T0_DpT1_.uses_flat_scratch, 0
	.set _ZN2at6native12_GLOBAL__N_125multi_tensor_apply_kernelINS1_28TensorListScalarListMetadataIN3c107complexIfEELi3EEENS1_26TernaryOpScalarListFunctorIS6_Li3ELi2ELi2EEEJNS0_11LerpFunctorIS6_EEEEEvT_T0_DpT1_.has_dyn_sized_stack, 0
	.set _ZN2at6native12_GLOBAL__N_125multi_tensor_apply_kernelINS1_28TensorListScalarListMetadataIN3c107complexIfEELi3EEENS1_26TernaryOpScalarListFunctorIS6_Li3ELi2ELi2EEEJNS0_11LerpFunctorIS6_EEEEEvT_T0_DpT1_.has_recursion, 0
	.set _ZN2at6native12_GLOBAL__N_125multi_tensor_apply_kernelINS1_28TensorListScalarListMetadataIN3c107complexIfEELi3EEENS1_26TernaryOpScalarListFunctorIS6_Li3ELi2ELi2EEEJNS0_11LerpFunctorIS6_EEEEEvT_T0_DpT1_.has_indirect_call, 0
	.section	.AMDGPU.csdata,"",@progbits
; Kernel info:
; codeLenInByte = 2536
; TotalNumSgprs: 32
; NumVgprs: 60
; ScratchSize: 0
; MemoryBound: 1
; FloatMode: 240
; IeeeMode: 1
; LDSByteSize: 0 bytes/workgroup (compile time only)
; SGPRBlocks: 0
; VGPRBlocks: 3
; NumSGPRsForWavesPerEU: 32
; NumVGPRsForWavesPerEU: 60
; NamedBarCnt: 0
; Occupancy: 16
; WaveLimiterHint : 1
; COMPUTE_PGM_RSRC2:SCRATCH_EN: 0
; COMPUTE_PGM_RSRC2:USER_SGPR: 2
; COMPUTE_PGM_RSRC2:TRAP_HANDLER: 0
; COMPUTE_PGM_RSRC2:TGID_X_EN: 1
; COMPUTE_PGM_RSRC2:TGID_Y_EN: 0
; COMPUTE_PGM_RSRC2:TGID_Z_EN: 0
; COMPUTE_PGM_RSRC2:TIDIG_COMP_CNT: 0
	.section	.text._ZN2at6native12_GLOBAL__N_125multi_tensor_apply_kernelINS1_28TensorListScalarListMetadataIfLi3EEENS1_26TernaryOpScalarListFunctorIN3c104HalfELi3ELi2ELi2EEEJNS0_11LerpFunctorIfEEEEEvT_T0_DpT1_,"axG",@progbits,_ZN2at6native12_GLOBAL__N_125multi_tensor_apply_kernelINS1_28TensorListScalarListMetadataIfLi3EEENS1_26TernaryOpScalarListFunctorIN3c104HalfELi3ELi2ELi2EEEJNS0_11LerpFunctorIfEEEEEvT_T0_DpT1_,comdat
	.globl	_ZN2at6native12_GLOBAL__N_125multi_tensor_apply_kernelINS1_28TensorListScalarListMetadataIfLi3EEENS1_26TernaryOpScalarListFunctorIN3c104HalfELi3ELi2ELi2EEEJNS0_11LerpFunctorIfEEEEEvT_T0_DpT1_ ; -- Begin function _ZN2at6native12_GLOBAL__N_125multi_tensor_apply_kernelINS1_28TensorListScalarListMetadataIfLi3EEENS1_26TernaryOpScalarListFunctorIN3c104HalfELi3ELi2ELi2EEEJNS0_11LerpFunctorIfEEEEEvT_T0_DpT1_
	.p2align	8
	.type	_ZN2at6native12_GLOBAL__N_125multi_tensor_apply_kernelINS1_28TensorListScalarListMetadataIfLi3EEENS1_26TernaryOpScalarListFunctorIN3c104HalfELi3ELi2ELi2EEEJNS0_11LerpFunctorIfEEEEEvT_T0_DpT1_,@function
_ZN2at6native12_GLOBAL__N_125multi_tensor_apply_kernelINS1_28TensorListScalarListMetadataIfLi3EEENS1_26TernaryOpScalarListFunctorIN3c104HalfELi3ELi2ELi2EEEJNS0_11LerpFunctorIfEEEEEvT_T0_DpT1_: ; @_ZN2at6native12_GLOBAL__N_125multi_tensor_apply_kernelINS1_28TensorListScalarListMetadataIfLi3EEENS1_26TernaryOpScalarListFunctorIN3c104HalfELi3ELi2ELi2EEEJNS0_11LerpFunctorIfEEEEEvT_T0_DpT1_
; %bb.0:
	s_bfe_u32 s2, ttmp6, 0x4000c
	s_and_b32 s3, ttmp6, 15
	s_add_co_i32 s2, s2, 1
	s_getreg_b32 s4, hwreg(HW_REG_IB_STS2, 6, 4)
	s_mul_i32 s2, ttmp9, s2
	s_delay_alu instid0(SALU_CYCLE_1)
	s_add_co_i32 s3, s3, s2
	s_cmp_eq_u32 s4, 0
	s_cselect_b32 s2, ttmp9, s3
	s_mov_b32 s3, 0
	s_load_u8 s20, s[0:1], s2 offset:0x6c0
	s_add_nc_u64 s[4:5], s[0:1], s[2:3]
	s_mul_u64 s[6:7], s[2:3], 3
	s_delay_alu instid0(SALU_CYCLE_1)
	s_add_nc_u64 s[4:5], s[4:5], s[6:7]
	s_load_b32 s14, s[4:5], 0x800
	s_wait_kmcnt 0x0
	s_clause 0x3
	s_load_b64 s[8:9], s[0:1], s20 offset:0x180 scale_offset
	s_load_b64 s[10:11], s[0:1], s20 offset:0x300 scale_offset
	;; [unrolled: 1-line block ×4, first 2 shown]
	s_lshl_b32 s2, s20, 3
	s_ashr_i32 s15, s14, 31
	s_delay_alu instid0(SALU_CYCLE_1) | instskip(SKIP_3) | instid1(SALU_CYCLE_1)
	s_lshl_b64 s[4:5], s[14:15], 17
	s_wait_kmcnt 0x0
	s_and_b64 s[18:19], s[12:13], 7
	s_add_nc_u64 s[6:7], s[8:9], s[4:5]
	s_or_b32 s6, s10, s6
	s_delay_alu instid0(SALU_CYCLE_1) | instskip(NEXT) | instid1(SALU_CYCLE_1)
	s_and_b32 s6, s6, 7
	s_cmp_lg_u32 s6, 0
	s_add_nc_u64 s[6:7], s[0:1], s[2:3]
	s_cselect_b32 s22, -1, 0
	s_lshl_b32 s2, s20, 2
	s_lshl_b64 s[14:15], s[14:15], 16
	s_sub_nc_u64 s[20:21], 0, s[2:3]
	s_and_b32 s2, s16, 3
	s_add_nc_u64 s[6:7], s[6:7], s[20:21]
	s_or_b64 s[2:3], s[18:19], s[2:3]
	s_load_b32 s6, s[6:7], 0x600
	s_cmp_lg_u64 s[2:3], 0
	s_sub_nc_u64 s[14:15], s[16:17], s[14:15]
	s_cselect_b32 s2, -1, 0
	s_delay_alu instid0(SALU_CYCLE_1) | instskip(NEXT) | instid1(SALU_CYCLE_1)
	s_or_b32 s2, s22, s2
	s_and_not1_b32 vcc_lo, exec_lo, s2
	s_mov_b32 s2, -1
	s_cbranch_vccz .LBB28_5
; %bb.1:
	v_min_i64 v[2:3], 0x10000, s[14:15]
	v_dual_mov_b32 v9, 0 :: v_dual_lshlrev_b32 v8, 2, v0
	s_mov_b32 s3, exec_lo
	s_delay_alu instid0(VALU_DEP_1)
	v_cmpx_lt_i64_e64 v[8:9], v[2:3]
	s_cbranch_execz .LBB28_4
; %bb.2:
	s_load_b32 s2, s[0:1], 0xd14
	s_wait_kmcnt 0x0
	s_and_b32 s16, s6, 0x7fffffff
	s_sub_f32 s18, 1.0, s6
	v_dual_mov_b32 v1, v9 :: v_dual_lshlrev_b32 v8, 3, v0
	s_cmp_lt_f32 s16, 0.5
	s_mov_b32 s7, s6
	s_mov_b32 s19, s18
	v_mov_b64_e32 v[6:7], s[6:7]
	v_add_nc_u64_e32 v[8:9], s[4:5], v[8:9]
	s_cselect_b32 vcc_lo, -1, 0
	s_xor_b32 s20, s18, 0x80000000
	s_xor_b32 s7, s18, 0x80000000
	v_mov_b64_e32 v[12:13], s[18:19]
	v_mov_b64_e32 v[14:15], v[0:1]
	v_dual_mov_b32 v4, s6 :: v_dual_mov_b32 v5, s6
	v_dual_mov_b32 v10, s7 :: v_dual_mov_b32 v11, s20
	s_mov_b32 s17, 0
	s_and_b32 s16, s2, 0xffff
	s_mov_b32 s19, s17
	s_lshl_b32 s18, s16, 3
	s_mov_b32 s7, s17
.LBB28_3:                               ; =>This Inner Loop Header: Depth=1
	v_add_nc_u64_e32 v[16:17], s[12:13], v[8:9]
	v_add_nc_u64_e32 v[18:19], s[8:9], v[8:9]
	;; [unrolled: 1-line block ×3, first 2 shown]
	global_load_b64 v[20:21], v[16:17], off
	global_load_b64 v[22:23], v[18:19], off
	s_wait_xcnt 0x1
	v_lshlrev_b64_e32 v[16:17], 2, v[14:15]
	s_delay_alu instid0(VALU_DEP_1)
	v_cmp_ge_i64_e64 s2, v[16:17], v[2:3]
	v_add_nc_u64_e32 v[16:17], s[10:11], v[8:9]
	v_add_nc_u64_e32 v[8:9], s[18:19], v[8:9]
	s_or_b32 s7, s2, s7
	s_wait_loadcnt 0x1
	v_lshrrev_b32_e32 v1, 16, v21
	s_wait_xcnt 0x0
	v_cvt_f32_f16_e32 v18, v21
	s_wait_loadcnt 0x0
	v_dual_lshrrev_b32 v21, 16, v20 :: v_dual_lshrrev_b32 v25, 16, v23
	v_cvt_f32_f16_e32 v24, v23
	v_lshrrev_b32_e32 v23, 16, v22
	v_cvt_f32_f16_e32 v20, v20
	v_cvt_f32_f16_e32 v22, v22
	;; [unrolled: 1-line block ×6, first 2 shown]
	v_dual_sub_f32 v26, v22, v20 :: v_dual_sub_f32 v28, v24, v18
	s_delay_alu instid0(VALU_DEP_2) | instskip(NEXT) | instid1(VALU_DEP_1)
	v_dual_sub_f32 v29, v25, v19 :: v_dual_sub_f32 v27, v23, v21
	v_pk_fma_f32 v[18:19], v[4:5], v[28:29], v[18:19]
	s_delay_alu instid0(VALU_DEP_2) | instskip(SKIP_2) | instid1(VALU_DEP_1)
	v_pk_fma_f32 v[20:21], v[6:7], v[26:27], v[20:21]
	v_pk_fma_f32 v[22:23], v[12:13], v[26:27], v[22:23] neg_lo:[1,0,0] neg_hi:[1,0,0]
	v_pk_fma_f32 v[24:25], v[10:11], v[28:29], v[24:25]
	v_dual_cndmask_b32 v1, v23, v21, vcc_lo :: v_dual_cndmask_b32 v19, v25, v19, vcc_lo
	s_delay_alu instid0(VALU_DEP_2) | instskip(NEXT) | instid1(VALU_DEP_1)
	v_dual_cndmask_b32 v18, v24, v18, vcc_lo :: v_dual_cndmask_b32 v20, v22, v20, vcc_lo
	v_cvt_pk_f16_f32 v19, v18, v19
	s_delay_alu instid0(VALU_DEP_2)
	v_cvt_pk_f16_f32 v18, v20, v1
	global_store_b64 v[16:17], v[18:19], off
	s_wait_xcnt 0x0
	s_and_not1_b32 exec_lo, exec_lo, s7
	s_cbranch_execnz .LBB28_3
.LBB28_4:
	s_or_b32 exec_lo, exec_lo, s3
	s_mov_b32 s2, 0
.LBB28_5:
	s_delay_alu instid0(SALU_CYCLE_1)
	s_and_not1_b32 vcc_lo, exec_lo, s2
	s_cbranch_vccnz .LBB28_25
; %bb.6:
	v_cmp_lt_i64_e64 s2, s[14:15], 1
	s_and_b32 vcc_lo, exec_lo, s2
	s_cbranch_vccnz .LBB28_25
; %bb.7:
	s_load_b32 s0, s[0:1], 0xd14
	v_min_i64 v[2:3], 0x10000, s[14:15]
	v_min_u64 v[4:5], 0x10000, s[14:15]
	v_dual_mov_b32 v1, 0 :: v_dual_lshlrev_b32 v16, 1, v0
	s_wait_kmcnt 0x0
	s_and_b32 s1, s6, 0x7fffffff
	s_mov_b32 s3, 0
	s_sub_f32 s7, 1.0, s6
	v_dual_mov_b32 v17, v1 :: v_dual_mov_b32 v35, v1
	s_mov_b32 s15, s3
	s_mov_b32 s17, s3
	;; [unrolled: 1-line block ×3, first 2 shown]
	s_delay_alu instid0(VALU_DEP_1) | instskip(SKIP_3) | instid1(SALU_CYCLE_1)
	v_add_nc_u64_e32 v[6:7], s[12:13], v[16:17]
	v_add_nc_u64_e32 v[8:9], s[8:9], v[16:17]
	;; [unrolled: 1-line block ×3, first 2 shown]
	s_and_b32 s2, s0, 0xffff
	s_lshl_b32 s16, s2, 1
	s_cmp_lt_f32 s1, 0.5
	v_add_nc_u64_e32 v[10:11], s[2:3], v[0:1]
	v_mad_nc_u64_u32 v[22:23], s2, 6, v[16:17]
	s_mul_i32 s18, s2, 3
	s_cselect_b32 s0, -1, 0
	s_lshl_b32 s14, s2, 2
	v_add_nc_u64_e32 v[14:15], s[18:19], v[0:1]
	v_add_nc_u64_e32 v[32:33], s[14:15], v[16:17]
	v_lshlrev_b32_e32 v34, 1, v10
	v_add_nc_u64_e32 v[16:17], s[16:17], v[0:1]
	v_add_nc_u64_e32 v[18:19], s[12:13], v[22:23]
	;; [unrolled: 1-line block ×10, first 2 shown]
	s_lshl_b32 s8, s2, 3
	s_mov_b32 s9, s3
	s_mov_b64 s[10:11], 0
	s_branch .LBB28_9
.LBB28_8:                               ;   in Loop: Header=BB28_9 Depth=1
	s_wait_xcnt 0x0
	s_or_b32 exec_lo, exec_lo, s1
	s_add_nc_u64 s[10:11], s[10:11], s[14:15]
	v_add_nc_u64_e32 v[6:7], s[8:9], v[6:7]
	v_cmp_ge_i64_e32 vcc_lo, s[10:11], v[2:3]
	v_add_nc_u64_e32 v[8:9], s[8:9], v[8:9]
	v_add_nc_u64_e32 v[12:13], s[8:9], v[12:13]
	;; [unrolled: 1-line block ×11, first 2 shown]
	s_cbranch_vccnz .LBB28_25
.LBB28_9:                               ; =>This Inner Loop Header: Depth=1
	v_add_nc_u64_e32 v[36:37], s[10:11], v[0:1]
	v_mov_b32_e32 v38, 0
	s_delay_alu instid0(VALU_DEP_2)
	v_cmp_lt_u64_e32 vcc_lo, v[36:37], v[4:5]
	v_mov_b32_e32 v37, 0
	s_and_saveexec_b32 s1, vcc_lo
	s_cbranch_execz .LBB28_11
; %bb.10:                               ;   in Loop: Header=BB28_9 Depth=1
	v_add_nc_u64_e32 v[36:37], s[4:5], v[6:7]
	v_add_nc_u64_e32 v[38:39], s[4:5], v[8:9]
	global_load_u16 v40, v[36:37], off
	global_load_u16 v41, v[38:39], off
	s_wait_loadcnt 0x1
	s_wait_xcnt 0x1
	v_cvt_f32_f16_e32 v37, v40
	s_wait_loadcnt 0x0
	v_cvt_f32_f16_e32 v38, v41
.LBB28_11:                              ;   in Loop: Header=BB28_9 Depth=1
	s_or_b32 exec_lo, exec_lo, s1
	v_add_nc_u64_e32 v[40:41], s[10:11], v[10:11]
	v_dual_mov_b32 v36, 0 :: v_dual_mov_b32 v39, 0
	s_delay_alu instid0(VALU_DEP_2)
	v_cmp_lt_u64_e64 s1, v[40:41], v[4:5]
	v_mov_b32_e32 v40, 0
	s_and_saveexec_b32 s2, s1
	s_cbranch_execz .LBB28_13
; %bb.12:                               ;   in Loop: Header=BB28_9 Depth=1
	v_add_nc_u64_e32 v[40:41], s[4:5], v[24:25]
	v_add_nc_u64_e32 v[42:43], s[4:5], v[26:27]
	global_load_u16 v39, v[40:41], off
	global_load_u16 v44, v[42:43], off
	s_wait_loadcnt 0x1
	v_cvt_f32_f16_e32 v39, v39
	s_wait_loadcnt 0x0
	s_wait_xcnt 0x1
	v_cvt_f32_f16_e32 v40, v44
.LBB28_13:                              ;   in Loop: Header=BB28_9 Depth=1
	s_wait_xcnt 0x0
	s_or_b32 exec_lo, exec_lo, s2
	v_add_nc_u64_e32 v[42:43], s[10:11], v[16:17]
	v_mov_b32_e32 v41, 0
	s_delay_alu instid0(VALU_DEP_2)
	v_cmp_lt_u64_e64 s2, v[42:43], v[4:5]
	s_and_saveexec_b32 s3, s2
	s_cbranch_execz .LBB28_15
; %bb.14:                               ;   in Loop: Header=BB28_9 Depth=1
	v_add_nc_u64_e32 v[42:43], s[4:5], v[28:29]
	v_add_nc_u64_e32 v[44:45], s[4:5], v[30:31]
	global_load_u16 v36, v[42:43], off
	global_load_u16 v46, v[44:45], off
	s_wait_loadcnt 0x1
	v_cvt_f32_f16_e32 v41, v36
	s_wait_loadcnt 0x0
	v_cvt_f32_f16_e32 v36, v46
.LBB28_15:                              ;   in Loop: Header=BB28_9 Depth=1
	s_wait_xcnt 0x0
	s_or_b32 exec_lo, exec_lo, s3
	v_add_nc_u64_e32 v[42:43], s[10:11], v[14:15]
	s_delay_alu instid0(VALU_DEP_1)
	v_cmp_lt_u64_e64 s3, v[42:43], v[4:5]
	v_dual_mov_b32 v42, 0 :: v_dual_mov_b32 v43, 0
	s_and_saveexec_b32 s12, s3
	s_cbranch_execnz .LBB28_20
; %bb.16:                               ;   in Loop: Header=BB28_9 Depth=1
	s_or_b32 exec_lo, exec_lo, s12
	s_and_saveexec_b32 s12, vcc_lo
	s_cbranch_execnz .LBB28_21
.LBB28_17:                              ;   in Loop: Header=BB28_9 Depth=1
	s_or_b32 exec_lo, exec_lo, s12
	s_and_saveexec_b32 s12, s1
	s_cbranch_execnz .LBB28_22
.LBB28_18:                              ;   in Loop: Header=BB28_9 Depth=1
	s_or_b32 exec_lo, exec_lo, s12
	s_and_saveexec_b32 s1, s2
	s_cbranch_execnz .LBB28_23
.LBB28_19:                              ;   in Loop: Header=BB28_9 Depth=1
	s_or_b32 exec_lo, exec_lo, s1
	s_and_saveexec_b32 s1, s3
	s_cbranch_execz .LBB28_8
	s_branch .LBB28_24
.LBB28_20:                              ;   in Loop: Header=BB28_9 Depth=1
	v_add_nc_u64_e32 v[42:43], s[4:5], v[18:19]
	v_add_nc_u64_e32 v[44:45], s[4:5], v[20:21]
	global_load_u16 v46, v[42:43], off
	global_load_u16 v47, v[44:45], off
	s_wait_loadcnt 0x1
	s_wait_xcnt 0x1
	v_cvt_f32_f16_e32 v43, v46
	s_wait_loadcnt 0x0
	v_cvt_f32_f16_e32 v42, v47
	s_wait_xcnt 0x0
	s_or_b32 exec_lo, exec_lo, s12
	s_and_saveexec_b32 s12, vcc_lo
	s_cbranch_execz .LBB28_17
.LBB28_21:                              ;   in Loop: Header=BB28_9 Depth=1
	v_sub_f32_e32 v44, v38, v37
	s_delay_alu instid0(VALU_DEP_1) | instskip(SKIP_1) | instid1(VALU_DEP_2)
	v_dual_fmac_f32 v37, s6, v44 :: v_dual_fma_f32 v38, -s7, v44, v38
	v_add_nc_u64_e32 v[44:45], s[4:5], v[12:13]
	v_cndmask_b32_e64 v37, v38, v37, s0
	s_delay_alu instid0(VALU_DEP_1)
	v_cvt_f16_f32_e32 v37, v37
	global_store_b16 v[44:45], v37, off
	s_wait_xcnt 0x0
	s_or_b32 exec_lo, exec_lo, s12
	s_and_saveexec_b32 s12, s1
	s_cbranch_execz .LBB28_18
.LBB28_22:                              ;   in Loop: Header=BB28_9 Depth=1
	v_sub_f32_e32 v37, v40, v39
	s_delay_alu instid0(VALU_DEP_1) | instskip(NEXT) | instid1(VALU_DEP_1)
	v_dual_fmac_f32 v39, s6, v37 :: v_dual_fma_f32 v37, -s7, v37, v40
	v_cndmask_b32_e64 v37, v37, v39, s0
	v_add_nc_u64_e32 v[38:39], s[4:5], v[34:35]
	s_delay_alu instid0(VALU_DEP_2)
	v_cvt_f16_f32_e32 v37, v37
	global_store_b16 v[38:39], v37, off
	s_wait_xcnt 0x0
	s_or_b32 exec_lo, exec_lo, s12
	s_and_saveexec_b32 s1, s2
	s_cbranch_execz .LBB28_19
.LBB28_23:                              ;   in Loop: Header=BB28_9 Depth=1
	v_sub_f32_e32 v37, v36, v41
	s_delay_alu instid0(VALU_DEP_1) | instskip(NEXT) | instid1(VALU_DEP_1)
	v_dual_fmac_f32 v41, s6, v37 :: v_dual_fma_f32 v36, -s7, v37, v36
	v_cndmask_b32_e64 v38, v36, v41, s0
	v_add_nc_u64_e32 v[36:37], s[4:5], v[32:33]
	s_delay_alu instid0(VALU_DEP_2)
	v_cvt_f16_f32_e32 v38, v38
	global_store_b16 v[36:37], v38, off
	s_wait_xcnt 0x0
	s_or_b32 exec_lo, exec_lo, s1
	s_and_saveexec_b32 s1, s3
	s_cbranch_execz .LBB28_8
.LBB28_24:                              ;   in Loop: Header=BB28_9 Depth=1
	v_sub_f32_e32 v36, v42, v43
	s_delay_alu instid0(VALU_DEP_1) | instskip(NEXT) | instid1(VALU_DEP_1)
	v_dual_fmac_f32 v43, s6, v36 :: v_dual_fma_f32 v36, -s7, v36, v42
	v_cndmask_b32_e64 v38, v36, v43, s0
	v_add_nc_u64_e32 v[36:37], s[4:5], v[22:23]
	s_delay_alu instid0(VALU_DEP_2)
	v_cvt_f16_f32_e32 v38, v38
	global_store_b16 v[36:37], v38, off
	s_branch .LBB28_8
.LBB28_25:
	s_endpgm
	.section	.rodata,"a",@progbits
	.p2align	6, 0x0
	.amdhsa_kernel _ZN2at6native12_GLOBAL__N_125multi_tensor_apply_kernelINS1_28TensorListScalarListMetadataIfLi3EEENS1_26TernaryOpScalarListFunctorIN3c104HalfELi3ELi2ELi2EEEJNS0_11LerpFunctorIfEEEEEvT_T0_DpT1_
		.amdhsa_group_segment_fixed_size 0
		.amdhsa_private_segment_fixed_size 0
		.amdhsa_kernarg_size 3592
		.amdhsa_user_sgpr_count 2
		.amdhsa_user_sgpr_dispatch_ptr 0
		.amdhsa_user_sgpr_queue_ptr 0
		.amdhsa_user_sgpr_kernarg_segment_ptr 1
		.amdhsa_user_sgpr_dispatch_id 0
		.amdhsa_user_sgpr_kernarg_preload_length 0
		.amdhsa_user_sgpr_kernarg_preload_offset 0
		.amdhsa_user_sgpr_private_segment_size 0
		.amdhsa_wavefront_size32 1
		.amdhsa_uses_dynamic_stack 0
		.amdhsa_enable_private_segment 0
		.amdhsa_system_sgpr_workgroup_id_x 1
		.amdhsa_system_sgpr_workgroup_id_y 0
		.amdhsa_system_sgpr_workgroup_id_z 0
		.amdhsa_system_sgpr_workgroup_info 0
		.amdhsa_system_vgpr_workitem_id 0
		.amdhsa_next_free_vgpr 48
		.amdhsa_next_free_sgpr 23
		.amdhsa_named_barrier_count 0
		.amdhsa_reserve_vcc 1
		.amdhsa_float_round_mode_32 0
		.amdhsa_float_round_mode_16_64 0
		.amdhsa_float_denorm_mode_32 3
		.amdhsa_float_denorm_mode_16_64 3
		.amdhsa_fp16_overflow 0
		.amdhsa_memory_ordered 1
		.amdhsa_forward_progress 1
		.amdhsa_inst_pref_size 13
		.amdhsa_round_robin_scheduling 0
		.amdhsa_exception_fp_ieee_invalid_op 0
		.amdhsa_exception_fp_denorm_src 0
		.amdhsa_exception_fp_ieee_div_zero 0
		.amdhsa_exception_fp_ieee_overflow 0
		.amdhsa_exception_fp_ieee_underflow 0
		.amdhsa_exception_fp_ieee_inexact 0
		.amdhsa_exception_int_div_zero 0
	.end_amdhsa_kernel
	.section	.text._ZN2at6native12_GLOBAL__N_125multi_tensor_apply_kernelINS1_28TensorListScalarListMetadataIfLi3EEENS1_26TernaryOpScalarListFunctorIN3c104HalfELi3ELi2ELi2EEEJNS0_11LerpFunctorIfEEEEEvT_T0_DpT1_,"axG",@progbits,_ZN2at6native12_GLOBAL__N_125multi_tensor_apply_kernelINS1_28TensorListScalarListMetadataIfLi3EEENS1_26TernaryOpScalarListFunctorIN3c104HalfELi3ELi2ELi2EEEJNS0_11LerpFunctorIfEEEEEvT_T0_DpT1_,comdat
.Lfunc_end28:
	.size	_ZN2at6native12_GLOBAL__N_125multi_tensor_apply_kernelINS1_28TensorListScalarListMetadataIfLi3EEENS1_26TernaryOpScalarListFunctorIN3c104HalfELi3ELi2ELi2EEEJNS0_11LerpFunctorIfEEEEEvT_T0_DpT1_, .Lfunc_end28-_ZN2at6native12_GLOBAL__N_125multi_tensor_apply_kernelINS1_28TensorListScalarListMetadataIfLi3EEENS1_26TernaryOpScalarListFunctorIN3c104HalfELi3ELi2ELi2EEEJNS0_11LerpFunctorIfEEEEEvT_T0_DpT1_
                                        ; -- End function
	.set _ZN2at6native12_GLOBAL__N_125multi_tensor_apply_kernelINS1_28TensorListScalarListMetadataIfLi3EEENS1_26TernaryOpScalarListFunctorIN3c104HalfELi3ELi2ELi2EEEJNS0_11LerpFunctorIfEEEEEvT_T0_DpT1_.num_vgpr, 48
	.set _ZN2at6native12_GLOBAL__N_125multi_tensor_apply_kernelINS1_28TensorListScalarListMetadataIfLi3EEENS1_26TernaryOpScalarListFunctorIN3c104HalfELi3ELi2ELi2EEEJNS0_11LerpFunctorIfEEEEEvT_T0_DpT1_.num_agpr, 0
	.set _ZN2at6native12_GLOBAL__N_125multi_tensor_apply_kernelINS1_28TensorListScalarListMetadataIfLi3EEENS1_26TernaryOpScalarListFunctorIN3c104HalfELi3ELi2ELi2EEEJNS0_11LerpFunctorIfEEEEEvT_T0_DpT1_.numbered_sgpr, 23
	.set _ZN2at6native12_GLOBAL__N_125multi_tensor_apply_kernelINS1_28TensorListScalarListMetadataIfLi3EEENS1_26TernaryOpScalarListFunctorIN3c104HalfELi3ELi2ELi2EEEJNS0_11LerpFunctorIfEEEEEvT_T0_DpT1_.num_named_barrier, 0
	.set _ZN2at6native12_GLOBAL__N_125multi_tensor_apply_kernelINS1_28TensorListScalarListMetadataIfLi3EEENS1_26TernaryOpScalarListFunctorIN3c104HalfELi3ELi2ELi2EEEJNS0_11LerpFunctorIfEEEEEvT_T0_DpT1_.private_seg_size, 0
	.set _ZN2at6native12_GLOBAL__N_125multi_tensor_apply_kernelINS1_28TensorListScalarListMetadataIfLi3EEENS1_26TernaryOpScalarListFunctorIN3c104HalfELi3ELi2ELi2EEEJNS0_11LerpFunctorIfEEEEEvT_T0_DpT1_.uses_vcc, 1
	.set _ZN2at6native12_GLOBAL__N_125multi_tensor_apply_kernelINS1_28TensorListScalarListMetadataIfLi3EEENS1_26TernaryOpScalarListFunctorIN3c104HalfELi3ELi2ELi2EEEJNS0_11LerpFunctorIfEEEEEvT_T0_DpT1_.uses_flat_scratch, 0
	.set _ZN2at6native12_GLOBAL__N_125multi_tensor_apply_kernelINS1_28TensorListScalarListMetadataIfLi3EEENS1_26TernaryOpScalarListFunctorIN3c104HalfELi3ELi2ELi2EEEJNS0_11LerpFunctorIfEEEEEvT_T0_DpT1_.has_dyn_sized_stack, 0
	.set _ZN2at6native12_GLOBAL__N_125multi_tensor_apply_kernelINS1_28TensorListScalarListMetadataIfLi3EEENS1_26TernaryOpScalarListFunctorIN3c104HalfELi3ELi2ELi2EEEJNS0_11LerpFunctorIfEEEEEvT_T0_DpT1_.has_recursion, 0
	.set _ZN2at6native12_GLOBAL__N_125multi_tensor_apply_kernelINS1_28TensorListScalarListMetadataIfLi3EEENS1_26TernaryOpScalarListFunctorIN3c104HalfELi3ELi2ELi2EEEJNS0_11LerpFunctorIfEEEEEvT_T0_DpT1_.has_indirect_call, 0
	.section	.AMDGPU.csdata,"",@progbits
; Kernel info:
; codeLenInByte = 1652
; TotalNumSgprs: 25
; NumVgprs: 48
; ScratchSize: 0
; MemoryBound: 0
; FloatMode: 240
; IeeeMode: 1
; LDSByteSize: 0 bytes/workgroup (compile time only)
; SGPRBlocks: 0
; VGPRBlocks: 2
; NumSGPRsForWavesPerEU: 25
; NumVGPRsForWavesPerEU: 48
; NamedBarCnt: 0
; Occupancy: 16
; WaveLimiterHint : 0
; COMPUTE_PGM_RSRC2:SCRATCH_EN: 0
; COMPUTE_PGM_RSRC2:USER_SGPR: 2
; COMPUTE_PGM_RSRC2:TRAP_HANDLER: 0
; COMPUTE_PGM_RSRC2:TGID_X_EN: 1
; COMPUTE_PGM_RSRC2:TGID_Y_EN: 0
; COMPUTE_PGM_RSRC2:TGID_Z_EN: 0
; COMPUTE_PGM_RSRC2:TIDIG_COMP_CNT: 0
	.section	.text._ZN2at6native12_GLOBAL__N_125multi_tensor_apply_kernelINS1_28TensorListScalarListMetadataIfLi3EEENS1_26TernaryOpScalarListFunctorIN3c108BFloat16ELi3ELi2ELi2EEEJNS0_11LerpFunctorIfEEEEEvT_T0_DpT1_,"axG",@progbits,_ZN2at6native12_GLOBAL__N_125multi_tensor_apply_kernelINS1_28TensorListScalarListMetadataIfLi3EEENS1_26TernaryOpScalarListFunctorIN3c108BFloat16ELi3ELi2ELi2EEEJNS0_11LerpFunctorIfEEEEEvT_T0_DpT1_,comdat
	.globl	_ZN2at6native12_GLOBAL__N_125multi_tensor_apply_kernelINS1_28TensorListScalarListMetadataIfLi3EEENS1_26TernaryOpScalarListFunctorIN3c108BFloat16ELi3ELi2ELi2EEEJNS0_11LerpFunctorIfEEEEEvT_T0_DpT1_ ; -- Begin function _ZN2at6native12_GLOBAL__N_125multi_tensor_apply_kernelINS1_28TensorListScalarListMetadataIfLi3EEENS1_26TernaryOpScalarListFunctorIN3c108BFloat16ELi3ELi2ELi2EEEJNS0_11LerpFunctorIfEEEEEvT_T0_DpT1_
	.p2align	8
	.type	_ZN2at6native12_GLOBAL__N_125multi_tensor_apply_kernelINS1_28TensorListScalarListMetadataIfLi3EEENS1_26TernaryOpScalarListFunctorIN3c108BFloat16ELi3ELi2ELi2EEEJNS0_11LerpFunctorIfEEEEEvT_T0_DpT1_,@function
_ZN2at6native12_GLOBAL__N_125multi_tensor_apply_kernelINS1_28TensorListScalarListMetadataIfLi3EEENS1_26TernaryOpScalarListFunctorIN3c108BFloat16ELi3ELi2ELi2EEEJNS0_11LerpFunctorIfEEEEEvT_T0_DpT1_: ; @_ZN2at6native12_GLOBAL__N_125multi_tensor_apply_kernelINS1_28TensorListScalarListMetadataIfLi3EEENS1_26TernaryOpScalarListFunctorIN3c108BFloat16ELi3ELi2ELi2EEEJNS0_11LerpFunctorIfEEEEEvT_T0_DpT1_
; %bb.0:
	s_bfe_u32 s2, ttmp6, 0x4000c
	s_and_b32 s3, ttmp6, 15
	s_add_co_i32 s2, s2, 1
	s_getreg_b32 s4, hwreg(HW_REG_IB_STS2, 6, 4)
	s_mul_i32 s2, ttmp9, s2
	s_delay_alu instid0(SALU_CYCLE_1)
	s_add_co_i32 s3, s3, s2
	s_cmp_eq_u32 s4, 0
	s_cselect_b32 s2, ttmp9, s3
	s_mov_b32 s3, 0
	s_load_u8 s20, s[0:1], s2 offset:0x6c0
	s_add_nc_u64 s[4:5], s[0:1], s[2:3]
	s_mul_u64 s[6:7], s[2:3], 3
	s_delay_alu instid0(SALU_CYCLE_1)
	s_add_nc_u64 s[4:5], s[4:5], s[6:7]
	s_load_b32 s6, s[4:5], 0x800
	s_wait_kmcnt 0x0
	s_clause 0x3
	s_load_b64 s[8:9], s[0:1], s20 offset:0x180 scale_offset
	s_load_b64 s[10:11], s[0:1], s20 offset:0x300 scale_offset
	;; [unrolled: 1-line block ×4, first 2 shown]
	s_lshl_b32 s2, s20, 3
	s_ashr_i32 s7, s6, 31
	s_delay_alu instid0(SALU_CYCLE_1) | instskip(SKIP_2) | instid1(SALU_CYCLE_1)
	s_lshl_b64 s[4:5], s[6:7], 17
	s_wait_kmcnt 0x0
	s_add_nc_u64 s[16:17], s[8:9], s[4:5]
	s_or_b32 s16, s10, s16
	s_delay_alu instid0(SALU_CYCLE_1)
	s_and_b32 s18, s16, 7
	s_and_b64 s[16:17], s[12:13], 7
	s_cmp_lg_u32 s18, 0
	s_add_nc_u64 s[18:19], s[0:1], s[2:3]
	s_cselect_b32 s22, -1, 0
	s_lshl_b32 s2, s20, 2
	s_lshl_b64 s[6:7], s[6:7], 16
	s_sub_nc_u64 s[20:21], 0, s[2:3]
	s_and_b32 s2, s14, 3
	s_add_nc_u64 s[18:19], s[18:19], s[20:21]
	s_or_b64 s[2:3], s[16:17], s[2:3]
	s_load_b32 s18, s[18:19], 0x600
	s_cmp_lg_u64 s[2:3], 0
	s_sub_nc_u64 s[14:15], s[14:15], s[6:7]
	s_cselect_b32 s2, -1, 0
	s_delay_alu instid0(SALU_CYCLE_1) | instskip(NEXT) | instid1(SALU_CYCLE_1)
	s_or_b32 s2, s22, s2
	s_and_not1_b32 vcc_lo, exec_lo, s2
	s_mov_b32 s2, -1
	s_cbranch_vccz .LBB29_5
; %bb.1:
	v_min_i64 v[2:3], 0x10000, s[14:15]
	v_dual_mov_b32 v5, 0 :: v_dual_lshlrev_b32 v4, 2, v0
	s_wait_xcnt 0x0
	s_mov_b32 s19, exec_lo
	s_delay_alu instid0(VALU_DEP_1)
	v_cmpx_lt_i64_e64 v[4:5], v[2:3]
	s_cbranch_execz .LBB29_4
; %bb.2:
	s_load_b32 s2, s[0:1], 0xd14
	v_dual_mov_b32 v1, v5 :: v_dual_lshlrev_b32 v4, 3, v0
	s_wait_kmcnt 0x0
	s_and_b32 s3, s18, 0x7fffffff
	s_sub_f32 s20, 1.0, s18
	s_cmp_lt_f32 s3, 0.5
	v_mov_b64_e32 v[6:7], v[0:1]
	v_add_nc_u64_e32 v[4:5], s[4:5], v[4:5]
	s_mov_b32 s7, 0
	s_cselect_b32 vcc_lo, -1, 0
	s_mov_b32 s17, s7
	s_mov_b32 s21, s7
	s_and_b32 s6, s2, 0xffff
	s_delay_alu instid0(SALU_CYCLE_1)
	s_lshl_b32 s16, s6, 3
.LBB29_3:                               ; =>This Inner Loop Header: Depth=1
	v_add_nc_u64_e32 v[8:9], s[12:13], v[4:5]
	v_add_nc_u64_e32 v[10:11], s[8:9], v[4:5]
	;; [unrolled: 1-line block ×3, first 2 shown]
	global_load_b64 v[12:13], v[8:9], off
	global_load_b64 v[14:15], v[10:11], off
	s_wait_xcnt 0x1
	v_lshlrev_b64_e32 v[8:9], 2, v[6:7]
	s_wait_loadcnt 0x0
	s_wait_xcnt 0x0
	v_dual_lshlrev_b32 v1, 16, v12 :: v_dual_lshlrev_b32 v10, 16, v14
	v_and_b32_e32 v11, 0xffff0000, v12
	v_and_b32_e32 v16, 0xffff0000, v14
	v_alignbit_b32 v17, v13, v12, 16
	v_alignbit_b32 v18, v15, v14, 16
	v_and_b32_e32 v19, 0xffff0000, v13
	v_and_b32_e32 v20, 0xffff0000, v15
	v_dual_sub_f32 v1, v10, v1 :: v_dual_sub_f32 v10, v16, v11
	v_and_b32_e32 v11, 0xffff0000, v17
	v_and_b32_e32 v16, 0xffff0000, v18
	s_delay_alu instid0(VALU_DEP_4) | instskip(NEXT) | instid1(VALU_DEP_4)
	v_sub_f32_e32 v19, v20, v19
	v_fma_mix_f32_bf16 v20, s18, v1, v12 op_sel_hi:[0,0,1]
	v_fma_mix_f32_bf16 v1, -s20, v1, v14 op_sel_hi:[0,0,1]
	v_fma_mix_f32_bf16 v12, s18, v10, v12 op_sel:[0,0,1] op_sel_hi:[0,0,1]
	v_fma_mix_f32_bf16 v10, -s20, v10, v14 op_sel:[0,0,1] op_sel_hi:[0,0,1]
	s_delay_alu instid0(VALU_DEP_3) | instskip(SKIP_2) | instid1(VALU_DEP_4)
	v_dual_sub_f32 v11, v16, v11 :: v_dual_cndmask_b32 v1, v1, v20, vcc_lo
	v_fma_mix_f32_bf16 v13, s18, v19, v13 op_sel:[0,0,1] op_sel_hi:[0,0,1]
	v_fma_mix_f32_bf16 v14, -s20, v19, v15 op_sel:[0,0,1] op_sel_hi:[0,0,1]
	v_cndmask_b32_e32 v10, v10, v12, vcc_lo
	s_delay_alu instid0(VALU_DEP_4)
	v_fma_mix_f32_bf16 v12, s18, v11, v17 op_sel:[0,0,1] op_sel_hi:[0,0,1]
	v_fma_mix_f32_bf16 v11, -s20, v11, v18 op_sel:[0,0,1] op_sel_hi:[0,0,1]
	v_cmp_o_f32_e64 s3, v1, v1
	v_cndmask_b32_e32 v13, v14, v13, vcc_lo
	v_bfe_u32 v14, v1, 16, 1
	v_bfe_u32 v15, v10, 16, 1
	v_cndmask_b32_e32 v11, v11, v12, vcc_lo
	v_cmp_o_f32_e64 s2, v10, v10
	v_bfe_u32 v12, v13, 16, 1
	v_add3_u32 v14, v1, v14, 0x7fff
	v_add3_u32 v15, v10, v15, 0x7fff
	v_bfe_u32 v16, v11, 16, 1
	s_delay_alu instid0(VALU_DEP_4) | instskip(NEXT) | instid1(VALU_DEP_3)
	v_add3_u32 v12, v13, v12, 0x7fff
	v_and_b32_e32 v15, 0xffff0000, v15
	s_delay_alu instid0(VALU_DEP_3) | instskip(SKIP_1) | instid1(VALU_DEP_4)
	v_add3_u32 v16, v11, v16, 0x7fff
	v_lshrrev_b32_e32 v14, 16, v14
	v_and_b32_e32 v10, 0xffff0000, v12
	s_delay_alu instid0(VALU_DEP_3) | instskip(NEXT) | instid1(VALU_DEP_3)
	v_lshrrev_b32_e32 v12, 16, v16
	v_cndmask_b32_e64 v1, 0x7fc0, v14, s3
	v_cndmask_b32_e64 v14, 0x7fc00000, v15, s2
	v_cmp_o_f32_e64 s2, v13, v13
	s_delay_alu instid0(VALU_DEP_2) | instskip(NEXT) | instid1(VALU_DEP_2)
	v_or_b32_e32 v1, v1, v14
	v_cndmask_b32_e64 v10, 0x7fc00000, v10, s2
	v_cmp_o_f32_e64 s2, v11, v11
	s_delay_alu instid0(VALU_DEP_1) | instskip(SKIP_3) | instid1(VALU_DEP_4)
	v_cndmask_b32_e64 v11, 0x7fc0, v12, s2
	v_cmp_ge_i64_e64 s2, v[8:9], v[2:3]
	v_add_nc_u64_e32 v[8:9], s[10:11], v[4:5]
	v_add_nc_u64_e32 v[4:5], s[16:17], v[4:5]
	v_or3_b32 v11, 0, v11, v10
	v_or3_b32 v10, v1, 0, 0
	s_or_b32 s21, s2, s21
	global_store_b64 v[8:9], v[10:11], off
	s_wait_xcnt 0x0
	s_and_not1_b32 exec_lo, exec_lo, s21
	s_cbranch_execnz .LBB29_3
.LBB29_4:
	s_or_b32 exec_lo, exec_lo, s19
	s_mov_b32 s2, 0
.LBB29_5:
	s_delay_alu instid0(SALU_CYCLE_1)
	s_and_not1_b32 vcc_lo, exec_lo, s2
	s_cbranch_vccnz .LBB29_25
; %bb.6:
	v_cmp_lt_i64_e64 s2, s[14:15], 1
	s_and_b32 vcc_lo, exec_lo, s2
	s_cbranch_vccnz .LBB29_25
; %bb.7:
	s_load_b32 s0, s[0:1], 0xd14
	v_min_i64 v[2:3], 0x10000, s[14:15]
	v_min_u64 v[6:7], 0x10000, s[14:15]
	v_dual_mov_b32 v4, 0 :: v_dual_lshlrev_b32 v18, 1, v0
	s_mov_b32 s7, 0
	s_wait_kmcnt 0x0
	s_and_b32 s1, s18, 0x7fffffff
	s_mov_b32 s3, s7
	v_dual_mov_b32 v19, v4 :: v_dual_mov_b32 v1, v4
	s_mov_b32 s15, s7
	s_mov_b32 s17, s7
	s_delay_alu instid0(VALU_DEP_1) | instskip(SKIP_3) | instid1(SALU_CYCLE_1)
	v_add_nc_u64_e32 v[8:9], s[12:13], v[18:19]
	v_add_nc_u64_e32 v[10:11], s[8:9], v[18:19]
	v_add_nc_u64_e32 v[14:15], s[10:11], v[18:19]
	s_and_b32 s2, s0, 0xffff
	s_lshl_b32 s14, s2, 1
	s_cmp_lt_f32 s1, 0.5
	v_add_nc_u64_e32 v[12:13], s[2:3], v[0:1]
	v_mad_nc_u64_u32 v[24:25], s2, 6, v[18:19]
	v_mov_b32_e32 v37, v4
	s_cselect_b32 s0, -1, 0
	s_lshl_b32 s6, s2, 2
	s_mul_i32 s16, s2, 3
	v_add_nc_u64_e32 v[34:35], s[6:7], v[18:19]
	v_lshlrev_b32_e32 v36, 1, v12
	v_add_nc_u64_e32 v[16:17], s[16:17], v[0:1]
	v_add_nc_u64_e32 v[18:19], s[14:15], v[0:1]
	;; [unrolled: 1-line block ×11, first 2 shown]
	s_sub_f32 s12, 1.0, s18
	s_lshl_b32 s8, s2, 3
	s_mov_b32 s9, s7
	s_mov_b64 s[10:11], 0
	s_branch .LBB29_9
.LBB29_8:                               ;   in Loop: Header=BB29_9 Depth=1
	s_wait_xcnt 0x0
	s_or_b32 exec_lo, exec_lo, s1
	s_add_nc_u64 s[10:11], s[10:11], s[6:7]
	v_add_nc_u64_e32 v[8:9], s[8:9], v[8:9]
	v_cmp_ge_i64_e32 vcc_lo, s[10:11], v[2:3]
	v_add_nc_u64_e32 v[10:11], s[8:9], v[10:11]
	v_add_nc_u64_e32 v[14:15], s[8:9], v[14:15]
	;; [unrolled: 1-line block ×11, first 2 shown]
	s_cbranch_vccnz .LBB29_25
.LBB29_9:                               ; =>This Inner Loop Header: Depth=1
	v_add_nc_u64_e32 v[40:41], s[10:11], v[0:1]
	v_mov_b64_e32 v[38:39], 0
	s_delay_alu instid0(VALU_DEP_2)
	v_cmp_lt_u64_e32 vcc_lo, v[40:41], v[6:7]
	v_mov_b64_e32 v[40:41], 0
	s_and_saveexec_b32 s1, vcc_lo
	s_cbranch_execz .LBB29_11
; %bb.10:                               ;   in Loop: Header=BB29_9 Depth=1
	v_add_nc_u64_e32 v[38:39], s[4:5], v[8:9]
	v_add_nc_u64_e32 v[40:41], s[4:5], v[10:11]
	global_load_u16 v5, v[38:39], off
	global_load_u16 v42, v[40:41], off
	s_wait_xcnt 0x0
	v_dual_mov_b32 v41, s7 :: v_dual_mov_b32 v39, s7
	s_wait_loadcnt 0x1
	v_and_b32_e32 v40, 0xffff, v5
	s_wait_loadcnt 0x0
	v_and_b32_e32 v38, 0xffff, v42
.LBB29_11:                              ;   in Loop: Header=BB29_9 Depth=1
	s_or_b32 exec_lo, exec_lo, s1
	v_add_nc_u64_e32 v[42:43], s[10:11], v[12:13]
	s_delay_alu instid0(VALU_DEP_1)
	v_cmp_lt_u64_e64 s1, v[42:43], v[6:7]
	s_and_saveexec_b32 s2, s1
	s_cbranch_execz .LBB29_13
; %bb.12:                               ;   in Loop: Header=BB29_9 Depth=1
	v_add_nc_u64_e32 v[42:43], s[4:5], v[26:27]
	v_add_nc_u64_e32 v[44:45], s[4:5], v[28:29]
	global_load_u16 v5, v[42:43], off
	global_load_u16 v46, v[44:45], off
	s_wait_loadcnt 0x1
	v_lshl_or_b32 v40, v5, 16, v40
	s_wait_loadcnt 0x0
	v_lshl_or_b32 v38, v46, 16, v38
.LBB29_13:                              ;   in Loop: Header=BB29_9 Depth=1
	s_wait_xcnt 0x0
	s_or_b32 exec_lo, exec_lo, s2
	v_add_nc_u64_e32 v[42:43], s[10:11], v[18:19]
	s_delay_alu instid0(VALU_DEP_1) | instskip(SKIP_2) | instid1(SALU_CYCLE_1)
	v_cmp_lt_u64_e64 s2, v[42:43], v[6:7]
	v_cmp_ge_u64_e64 s3, v[42:43], v[6:7]
	s_and_saveexec_b32 s13, s3
	s_xor_b32 s3, exec_lo, s13
	s_delay_alu instid0(SALU_CYCLE_1)
	s_and_not1_saveexec_b32 s3, s3
	s_cbranch_execz .LBB29_15
; %bb.14:                               ;   in Loop: Header=BB29_9 Depth=1
	v_add_nc_u64_e32 v[42:43], s[4:5], v[30:31]
	v_add_nc_u64_e32 v[44:45], s[4:5], v[32:33]
	global_load_u16 v5, v[42:43], off
	global_load_u16 v46, v[44:45], off
	s_wait_loadcnt 0x1
	v_or_b32_e32 v41, v5, v41
	s_wait_loadcnt 0x0
	v_or_b32_e32 v39, v46, v39
.LBB29_15:                              ;   in Loop: Header=BB29_9 Depth=1
	s_wait_xcnt 0x0
	s_or_b32 exec_lo, exec_lo, s3
	v_add_nc_u64_e32 v[42:43], s[10:11], v[16:17]
	s_delay_alu instid0(VALU_DEP_1)
	v_cmp_lt_u64_e64 s3, v[42:43], v[6:7]
	s_and_saveexec_b32 s13, s3
	s_cbranch_execnz .LBB29_20
; %bb.16:                               ;   in Loop: Header=BB29_9 Depth=1
	s_or_b32 exec_lo, exec_lo, s13
	s_and_saveexec_b32 s13, vcc_lo
	s_cbranch_execnz .LBB29_21
.LBB29_17:                              ;   in Loop: Header=BB29_9 Depth=1
	s_or_b32 exec_lo, exec_lo, s13
	s_and_saveexec_b32 s13, s1
	s_cbranch_execnz .LBB29_22
.LBB29_18:                              ;   in Loop: Header=BB29_9 Depth=1
	s_or_b32 exec_lo, exec_lo, s13
	s_and_saveexec_b32 s1, s2
	s_cbranch_execnz .LBB29_23
.LBB29_19:                              ;   in Loop: Header=BB29_9 Depth=1
	s_or_b32 exec_lo, exec_lo, s1
	s_and_saveexec_b32 s1, s3
	s_cbranch_execz .LBB29_8
	s_branch .LBB29_24
.LBB29_20:                              ;   in Loop: Header=BB29_9 Depth=1
	v_add_nc_u64_e32 v[42:43], s[4:5], v[22:23]
	v_add_nc_u64_e32 v[44:45], s[4:5], v[20:21]
	global_load_u16 v5, v[42:43], off
	global_load_u16 v46, v[44:45], off
	s_wait_loadcnt 0x0
	s_wait_xcnt 0x1
	v_dual_lshlrev_b32 v5, 16, v5 :: v_dual_lshlrev_b32 v42, 16, v46
	s_delay_alu instid0(VALU_DEP_1) | instskip(NEXT) | instid1(VALU_DEP_2)
	v_add_nc_u64_e32 v[38:39], v[4:5], v[38:39]
	v_or_b32_e32 v41, v42, v41
	s_wait_xcnt 0x0
	s_or_b32 exec_lo, exec_lo, s13
	s_and_saveexec_b32 s13, vcc_lo
	s_cbranch_execz .LBB29_17
.LBB29_21:                              ;   in Loop: Header=BB29_9 Depth=1
	s_delay_alu instid0(VALU_DEP_2) | instskip(NEXT) | instid1(VALU_DEP_1)
	v_dual_lshlrev_b32 v5, 16, v38 :: v_dual_lshlrev_b32 v42, 16, v40
	v_sub_f32_e32 v5, v5, v42
	s_delay_alu instid0(VALU_DEP_1) | instskip(SKIP_1) | instid1(VALU_DEP_1)
	v_fma_mix_f32_bf16 v42, s18, v5, v40 op_sel_hi:[0,0,1]
	v_fma_mix_f32_bf16 v5, -s12, v5, v38 op_sel_hi:[0,0,1]
	v_cndmask_b32_e64 v5, v5, v42, s0
	s_delay_alu instid0(VALU_DEP_1) | instskip(SKIP_1) | instid1(VALU_DEP_2)
	v_bfe_u32 v42, v5, 16, 1
	v_cmp_o_f32_e32 vcc_lo, v5, v5
	v_add3_u32 v42, v5, v42, 0x7fff
	s_delay_alu instid0(VALU_DEP_1) | instskip(SKIP_1) | instid1(VALU_DEP_2)
	v_lshrrev_b32_e32 v44, 16, v42
	v_add_nc_u64_e32 v[42:43], s[4:5], v[14:15]
	v_cndmask_b32_e32 v5, 0x7fc0, v44, vcc_lo
	global_store_b16 v[42:43], v5, off
	s_wait_xcnt 0x0
	s_or_b32 exec_lo, exec_lo, s13
	s_and_saveexec_b32 s13, s1
	s_cbranch_execz .LBB29_18
.LBB29_22:                              ;   in Loop: Header=BB29_9 Depth=1
	v_and_b32_e32 v5, 0xffff0000, v40
	v_and_b32_e32 v42, 0xffff0000, v38
	s_delay_alu instid0(VALU_DEP_1) | instskip(NEXT) | instid1(VALU_DEP_1)
	v_sub_f32_e32 v5, v42, v5
	v_fma_mix_f32_bf16 v42, s18, v5, v40 op_sel:[0,0,1] op_sel_hi:[0,0,1]
	v_fma_mix_f32_bf16 v5, -s12, v5, v38 op_sel:[0,0,1] op_sel_hi:[0,0,1]
	s_delay_alu instid0(VALU_DEP_1) | instskip(NEXT) | instid1(VALU_DEP_1)
	v_cndmask_b32_e64 v5, v5, v42, s0
	v_bfe_u32 v42, v5, 16, 1
	v_cmp_o_f32_e32 vcc_lo, v5, v5
	s_delay_alu instid0(VALU_DEP_2) | instskip(NEXT) | instid1(VALU_DEP_1)
	v_add3_u32 v42, v5, v42, 0x7fff
	v_lshrrev_b32_e32 v44, 16, v42
	v_add_nc_u64_e32 v[42:43], s[4:5], v[36:37]
	s_delay_alu instid0(VALU_DEP_2)
	v_cndmask_b32_e32 v5, 0x7fc0, v44, vcc_lo
	global_store_b16 v[42:43], v5, off
	s_wait_xcnt 0x0
	s_or_b32 exec_lo, exec_lo, s13
	s_and_saveexec_b32 s1, s2
	s_cbranch_execz .LBB29_19
.LBB29_23:                              ;   in Loop: Header=BB29_9 Depth=1
	v_alignbit_b32 v5, v41, v40, 16
	v_alignbit_b32 v38, v39, v38, 16
	s_delay_alu instid0(VALU_DEP_2) | instskip(NEXT) | instid1(VALU_DEP_2)
	v_and_b32_e32 v40, 0xffff0000, v5
	v_and_b32_e32 v42, 0xffff0000, v38
	s_delay_alu instid0(VALU_DEP_1) | instskip(SKIP_1) | instid1(VALU_DEP_2)
	v_sub_f32_e32 v40, v42, v40
	v_add_nc_u64_e32 v[42:43], s[4:5], v[34:35]
	v_fma_mix_f32_bf16 v5, s18, v40, v5 op_sel:[0,0,1] op_sel_hi:[0,0,1]
	v_fma_mix_f32_bf16 v38, -s12, v40, v38 op_sel:[0,0,1] op_sel_hi:[0,0,1]
	s_delay_alu instid0(VALU_DEP_1) | instskip(NEXT) | instid1(VALU_DEP_1)
	v_cndmask_b32_e64 v5, v38, v5, s0
	v_bfe_u32 v38, v5, 16, 1
	v_cmp_o_f32_e32 vcc_lo, v5, v5
	s_delay_alu instid0(VALU_DEP_2) | instskip(NEXT) | instid1(VALU_DEP_1)
	v_add3_u32 v38, v5, v38, 0x7fff
	v_lshrrev_b32_e32 v38, 16, v38
	s_delay_alu instid0(VALU_DEP_1)
	v_cndmask_b32_e32 v5, 0x7fc0, v38, vcc_lo
	global_store_b16 v[42:43], v5, off
	s_wait_xcnt 0x0
	s_or_b32 exec_lo, exec_lo, s1
	s_and_saveexec_b32 s1, s3
	s_cbranch_execz .LBB29_8
.LBB29_24:                              ;   in Loop: Header=BB29_9 Depth=1
	v_and_b32_e32 v5, 0xffff0000, v41
	v_and_b32_e32 v38, 0xffff0000, v39
	s_delay_alu instid0(VALU_DEP_1) | instskip(NEXT) | instid1(VALU_DEP_1)
	v_sub_f32_e32 v5, v38, v5
	v_fma_mix_f32_bf16 v38, s18, v5, v41 op_sel:[0,0,1] op_sel_hi:[0,0,1]
	v_fma_mix_f32_bf16 v5, -s12, v5, v39 op_sel:[0,0,1] op_sel_hi:[0,0,1]
	s_delay_alu instid0(VALU_DEP_1) | instskip(NEXT) | instid1(VALU_DEP_1)
	v_cndmask_b32_e64 v5, v5, v38, s0
	v_bfe_u32 v38, v5, 16, 1
	v_cmp_o_f32_e32 vcc_lo, v5, v5
	s_delay_alu instid0(VALU_DEP_2) | instskip(NEXT) | instid1(VALU_DEP_1)
	v_add3_u32 v38, v5, v38, 0x7fff
	v_lshrrev_b32_e32 v40, 16, v38
	v_add_nc_u64_e32 v[38:39], s[4:5], v[24:25]
	s_delay_alu instid0(VALU_DEP_2)
	v_cndmask_b32_e32 v5, 0x7fc0, v40, vcc_lo
	global_store_b16 v[38:39], v5, off
	s_branch .LBB29_8
.LBB29_25:
	s_endpgm
	.section	.rodata,"a",@progbits
	.p2align	6, 0x0
	.amdhsa_kernel _ZN2at6native12_GLOBAL__N_125multi_tensor_apply_kernelINS1_28TensorListScalarListMetadataIfLi3EEENS1_26TernaryOpScalarListFunctorIN3c108BFloat16ELi3ELi2ELi2EEEJNS0_11LerpFunctorIfEEEEEvT_T0_DpT1_
		.amdhsa_group_segment_fixed_size 0
		.amdhsa_private_segment_fixed_size 0
		.amdhsa_kernarg_size 3592
		.amdhsa_user_sgpr_count 2
		.amdhsa_user_sgpr_dispatch_ptr 0
		.amdhsa_user_sgpr_queue_ptr 0
		.amdhsa_user_sgpr_kernarg_segment_ptr 1
		.amdhsa_user_sgpr_dispatch_id 0
		.amdhsa_user_sgpr_kernarg_preload_length 0
		.amdhsa_user_sgpr_kernarg_preload_offset 0
		.amdhsa_user_sgpr_private_segment_size 0
		.amdhsa_wavefront_size32 1
		.amdhsa_uses_dynamic_stack 0
		.amdhsa_enable_private_segment 0
		.amdhsa_system_sgpr_workgroup_id_x 1
		.amdhsa_system_sgpr_workgroup_id_y 0
		.amdhsa_system_sgpr_workgroup_id_z 0
		.amdhsa_system_sgpr_workgroup_info 0
		.amdhsa_system_vgpr_workitem_id 0
		.amdhsa_next_free_vgpr 47
		.amdhsa_next_free_sgpr 23
		.amdhsa_named_barrier_count 0
		.amdhsa_reserve_vcc 1
		.amdhsa_float_round_mode_32 0
		.amdhsa_float_round_mode_16_64 0
		.amdhsa_float_denorm_mode_32 3
		.amdhsa_float_denorm_mode_16_64 3
		.amdhsa_fp16_overflow 0
		.amdhsa_memory_ordered 1
		.amdhsa_forward_progress 1
		.amdhsa_inst_pref_size 17
		.amdhsa_round_robin_scheduling 0
		.amdhsa_exception_fp_ieee_invalid_op 0
		.amdhsa_exception_fp_denorm_src 0
		.amdhsa_exception_fp_ieee_div_zero 0
		.amdhsa_exception_fp_ieee_overflow 0
		.amdhsa_exception_fp_ieee_underflow 0
		.amdhsa_exception_fp_ieee_inexact 0
		.amdhsa_exception_int_div_zero 0
	.end_amdhsa_kernel
	.section	.text._ZN2at6native12_GLOBAL__N_125multi_tensor_apply_kernelINS1_28TensorListScalarListMetadataIfLi3EEENS1_26TernaryOpScalarListFunctorIN3c108BFloat16ELi3ELi2ELi2EEEJNS0_11LerpFunctorIfEEEEEvT_T0_DpT1_,"axG",@progbits,_ZN2at6native12_GLOBAL__N_125multi_tensor_apply_kernelINS1_28TensorListScalarListMetadataIfLi3EEENS1_26TernaryOpScalarListFunctorIN3c108BFloat16ELi3ELi2ELi2EEEJNS0_11LerpFunctorIfEEEEEvT_T0_DpT1_,comdat
.Lfunc_end29:
	.size	_ZN2at6native12_GLOBAL__N_125multi_tensor_apply_kernelINS1_28TensorListScalarListMetadataIfLi3EEENS1_26TernaryOpScalarListFunctorIN3c108BFloat16ELi3ELi2ELi2EEEJNS0_11LerpFunctorIfEEEEEvT_T0_DpT1_, .Lfunc_end29-_ZN2at6native12_GLOBAL__N_125multi_tensor_apply_kernelINS1_28TensorListScalarListMetadataIfLi3EEENS1_26TernaryOpScalarListFunctorIN3c108BFloat16ELi3ELi2ELi2EEEJNS0_11LerpFunctorIfEEEEEvT_T0_DpT1_
                                        ; -- End function
	.set _ZN2at6native12_GLOBAL__N_125multi_tensor_apply_kernelINS1_28TensorListScalarListMetadataIfLi3EEENS1_26TernaryOpScalarListFunctorIN3c108BFloat16ELi3ELi2ELi2EEEJNS0_11LerpFunctorIfEEEEEvT_T0_DpT1_.num_vgpr, 47
	.set _ZN2at6native12_GLOBAL__N_125multi_tensor_apply_kernelINS1_28TensorListScalarListMetadataIfLi3EEENS1_26TernaryOpScalarListFunctorIN3c108BFloat16ELi3ELi2ELi2EEEJNS0_11LerpFunctorIfEEEEEvT_T0_DpT1_.num_agpr, 0
	.set _ZN2at6native12_GLOBAL__N_125multi_tensor_apply_kernelINS1_28TensorListScalarListMetadataIfLi3EEENS1_26TernaryOpScalarListFunctorIN3c108BFloat16ELi3ELi2ELi2EEEJNS0_11LerpFunctorIfEEEEEvT_T0_DpT1_.numbered_sgpr, 23
	.set _ZN2at6native12_GLOBAL__N_125multi_tensor_apply_kernelINS1_28TensorListScalarListMetadataIfLi3EEENS1_26TernaryOpScalarListFunctorIN3c108BFloat16ELi3ELi2ELi2EEEJNS0_11LerpFunctorIfEEEEEvT_T0_DpT1_.num_named_barrier, 0
	.set _ZN2at6native12_GLOBAL__N_125multi_tensor_apply_kernelINS1_28TensorListScalarListMetadataIfLi3EEENS1_26TernaryOpScalarListFunctorIN3c108BFloat16ELi3ELi2ELi2EEEJNS0_11LerpFunctorIfEEEEEvT_T0_DpT1_.private_seg_size, 0
	.set _ZN2at6native12_GLOBAL__N_125multi_tensor_apply_kernelINS1_28TensorListScalarListMetadataIfLi3EEENS1_26TernaryOpScalarListFunctorIN3c108BFloat16ELi3ELi2ELi2EEEJNS0_11LerpFunctorIfEEEEEvT_T0_DpT1_.uses_vcc, 1
	.set _ZN2at6native12_GLOBAL__N_125multi_tensor_apply_kernelINS1_28TensorListScalarListMetadataIfLi3EEENS1_26TernaryOpScalarListFunctorIN3c108BFloat16ELi3ELi2ELi2EEEJNS0_11LerpFunctorIfEEEEEvT_T0_DpT1_.uses_flat_scratch, 0
	.set _ZN2at6native12_GLOBAL__N_125multi_tensor_apply_kernelINS1_28TensorListScalarListMetadataIfLi3EEENS1_26TernaryOpScalarListFunctorIN3c108BFloat16ELi3ELi2ELi2EEEJNS0_11LerpFunctorIfEEEEEvT_T0_DpT1_.has_dyn_sized_stack, 0
	.set _ZN2at6native12_GLOBAL__N_125multi_tensor_apply_kernelINS1_28TensorListScalarListMetadataIfLi3EEENS1_26TernaryOpScalarListFunctorIN3c108BFloat16ELi3ELi2ELi2EEEJNS0_11LerpFunctorIfEEEEEvT_T0_DpT1_.has_recursion, 0
	.set _ZN2at6native12_GLOBAL__N_125multi_tensor_apply_kernelINS1_28TensorListScalarListMetadataIfLi3EEENS1_26TernaryOpScalarListFunctorIN3c108BFloat16ELi3ELi2ELi2EEEJNS0_11LerpFunctorIfEEEEEvT_T0_DpT1_.has_indirect_call, 0
	.section	.AMDGPU.csdata,"",@progbits
; Kernel info:
; codeLenInByte = 2148
; TotalNumSgprs: 25
; NumVgprs: 47
; ScratchSize: 0
; MemoryBound: 0
; FloatMode: 240
; IeeeMode: 1
; LDSByteSize: 0 bytes/workgroup (compile time only)
; SGPRBlocks: 0
; VGPRBlocks: 2
; NumSGPRsForWavesPerEU: 25
; NumVGPRsForWavesPerEU: 47
; NamedBarCnt: 0
; Occupancy: 16
; WaveLimiterHint : 0
; COMPUTE_PGM_RSRC2:SCRATCH_EN: 0
; COMPUTE_PGM_RSRC2:USER_SGPR: 2
; COMPUTE_PGM_RSRC2:TRAP_HANDLER: 0
; COMPUTE_PGM_RSRC2:TGID_X_EN: 1
; COMPUTE_PGM_RSRC2:TGID_Y_EN: 0
; COMPUTE_PGM_RSRC2:TGID_Z_EN: 0
; COMPUTE_PGM_RSRC2:TIDIG_COMP_CNT: 0
	.section	.text._ZN2at6native12_GLOBAL__N_125multi_tensor_apply_kernelINS1_28TensorListScalarListMetadataIdLi2EEENS1_26TernaryOpScalarListFunctorIdLi2ELi2ELi0EEEJNS0_11LerpFunctorIdEEEEEvT_T0_DpT1_,"axG",@progbits,_ZN2at6native12_GLOBAL__N_125multi_tensor_apply_kernelINS1_28TensorListScalarListMetadataIdLi2EEENS1_26TernaryOpScalarListFunctorIdLi2ELi2ELi0EEEJNS0_11LerpFunctorIdEEEEEvT_T0_DpT1_,comdat
	.globl	_ZN2at6native12_GLOBAL__N_125multi_tensor_apply_kernelINS1_28TensorListScalarListMetadataIdLi2EEENS1_26TernaryOpScalarListFunctorIdLi2ELi2ELi0EEEJNS0_11LerpFunctorIdEEEEEvT_T0_DpT1_ ; -- Begin function _ZN2at6native12_GLOBAL__N_125multi_tensor_apply_kernelINS1_28TensorListScalarListMetadataIdLi2EEENS1_26TernaryOpScalarListFunctorIdLi2ELi2ELi0EEEJNS0_11LerpFunctorIdEEEEEvT_T0_DpT1_
	.p2align	8
	.type	_ZN2at6native12_GLOBAL__N_125multi_tensor_apply_kernelINS1_28TensorListScalarListMetadataIdLi2EEENS1_26TernaryOpScalarListFunctorIdLi2ELi2ELi0EEEJNS0_11LerpFunctorIdEEEEEvT_T0_DpT1_,@function
_ZN2at6native12_GLOBAL__N_125multi_tensor_apply_kernelINS1_28TensorListScalarListMetadataIdLi2EEENS1_26TernaryOpScalarListFunctorIdLi2ELi2ELi0EEEJNS0_11LerpFunctorIdEEEEEvT_T0_DpT1_: ; @_ZN2at6native12_GLOBAL__N_125multi_tensor_apply_kernelINS1_28TensorListScalarListMetadataIdLi2EEENS1_26TernaryOpScalarListFunctorIdLi2ELi2ELi0EEEJNS0_11LerpFunctorIdEEEEEvT_T0_DpT1_
; %bb.0:
	s_bfe_u32 s2, ttmp6, 0x4000c
	s_and_b32 s3, ttmp6, 15
	s_add_co_i32 s2, s2, 1
	s_getreg_b32 s4, hwreg(HW_REG_IB_STS2, 6, 4)
	s_mul_i32 s2, ttmp9, s2
	s_mov_b32 s11, 0
	s_add_co_i32 s3, s3, s2
	s_cmp_eq_u32 s4, 0
	s_mov_b32 s17, s11
	s_cselect_b32 s10, ttmp9, s3
	s_load_u8 s13, s[0:1], s10 offset:0x800
	s_add_nc_u64 s[2:3], s[0:1], s[10:11]
	s_mul_u64 s[4:5], s[10:11], 3
	s_delay_alu instid0(SALU_CYCLE_1)
	s_add_nc_u64 s[6:7], s[2:3], s[4:5]
	s_load_b32 s12, s[6:7], 0x940
	s_wait_kmcnt 0x0
	s_clause 0x3
	s_load_b64 s[2:3], s[0:1], s13 offset:0x0 scale_offset
	s_load_b64 s[4:5], s[0:1], s13 offset:0x600 scale_offset
	;; [unrolled: 1-line block ×4, first 2 shown]
	s_wait_xcnt 0x0
	s_ashr_i32 s13, s12, 31
	s_delay_alu instid0(SALU_CYCLE_1)
	s_lshl_b64 s[6:7], s[12:13], 19
	s_wait_kmcnt 0x0
	s_and_b64 s[20:21], s[8:9], 31
	s_add_nc_u64 s[18:19], s[2:3], s[6:7]
	s_and_b32 s16, s14, 3
	s_and_b32 s10, s18, 31
	s_or_b64 s[16:17], s[20:21], s[16:17]
	s_lshl_b64 s[12:13], s[12:13], 16
	s_or_b64 s[16:17], s[16:17], s[10:11]
	s_sub_nc_u64 s[10:11], s[14:15], s[12:13]
	s_cmp_eq_u64 s[16:17], 0
	s_mov_b32 s12, -1
	s_cbranch_scc0 .LBB30_21
; %bb.1:
	v_min_i64 v[22:23], 0x10000, s[10:11]
	v_dual_mov_b32 v3, 0 :: v_dual_lshlrev_b32 v2, 2, v0
	s_mov_b32 s16, exec_lo
	s_delay_alu instid0(VALU_DEP_1)
	v_cmpx_lt_i64_e64 v[2:3], v[22:23]
	s_cbranch_execz .LBB30_20
; %bb.2:
	v_add_f64_e64 v[24:25], -s[4:5], 1.0
	v_cmp_nlt_f64_e64 s17, |s[4:5]|, 0.5
	s_load_b32 s12, s[0:1], 0xe54
	v_dual_mov_b32 v1, v3 :: v_dual_lshlrev_b32 v2, 5, v0
	s_mov_b32 s13, 0
	s_delay_alu instid0(SALU_CYCLE_1) | instskip(NEXT) | instid1(VALU_DEP_1)
	s_mov_b32 s15, s13
	v_add_nc_u64_e32 v[26:27], s[6:7], v[2:3]
	s_delay_alu instid0(VALU_DEP_2) | instskip(SKIP_3) | instid1(SALU_CYCLE_1)
	v_mov_b64_e32 v[28:29], v[0:1]
	s_mov_b32 s18, s13
	s_wait_kmcnt 0x0
	s_and_b32 s12, s12, 0xffff
	s_lshl_b32 s14, s12, 5
	s_branch .LBB30_4
.LBB30_3:                               ;   in Loop: Header=BB30_4 Depth=1
	v_add_nc_u64_e32 v[28:29], s[12:13], v[28:29]
	v_add_nc_u64_e32 v[26:27], s[14:15], v[26:27]
	s_clause 0x1
	global_store_b128 v[30:31], v[2:5], off
	global_store_b128 v[30:31], v[14:17], off offset:16
	v_lshlrev_b64_e32 v[6:7], 2, v[28:29]
	s_delay_alu instid0(VALU_DEP_1)
	v_cmp_ge_i64_e32 vcc_lo, v[6:7], v[22:23]
	s_or_b32 s18, vcc_lo, s18
	s_wait_xcnt 0x0
	s_and_not1_b32 exec_lo, exec_lo, s18
	s_cbranch_execz .LBB30_20
.LBB30_4:                               ; =>This Inner Loop Header: Depth=1
	v_add_nc_u64_e32 v[2:3], s[8:9], v[26:27]
	v_add_nc_u64_e32 v[30:31], s[2:3], v[26:27]
	s_and_b32 vcc_lo, exec_lo, s17
	s_mov_b32 s19, -1
	global_load_b128 v[18:21], v[2:3], off
	s_clause 0x1
	global_load_b128 v[14:17], v[30:31], off
	global_load_b128 v[6:9], v[30:31], off offset:16
	global_load_b128 v[10:13], v[2:3], off offset:16
                                        ; implicit-def: $vgpr2_vgpr3
	s_wait_loadcnt 0x2
	v_add_f64_e64 v[4:5], v[18:19], -v[14:15]
	s_cbranch_vccz .LBB30_8
; %bb.5:                                ;   in Loop: Header=BB30_4 Depth=1
	s_wait_xcnt 0x0
	s_delay_alu instid0(VALU_DEP_1)
	v_fma_f64 v[2:3], -v[24:25], v[4:5], v[18:19]
	s_cbranch_execz .LBB30_9
.LBB30_6:                               ;   in Loop: Header=BB30_4 Depth=1
	v_add_f64_e64 v[14:15], v[20:21], -v[16:17]
	s_and_not1_b32 vcc_lo, exec_lo, s17
	s_mov_b32 s19, -1
	s_cbranch_vccnz .LBB30_10
.LBB30_7:                               ;   in Loop: Header=BB30_4 Depth=1
	s_delay_alu instid0(VALU_DEP_1)
	v_fma_f64 v[4:5], -v[24:25], v[14:15], v[20:21]
	s_cbranch_execnz .LBB30_12
	s_branch .LBB30_11
.LBB30_8:                               ;   in Loop: Header=BB30_4 Depth=1
	s_and_not1_b32 vcc_lo, exec_lo, s19
	s_cbranch_vccnz .LBB30_6
.LBB30_9:                               ;   in Loop: Header=BB30_4 Depth=1
	s_delay_alu instid0(VALU_DEP_1) | instskip(SKIP_1) | instid1(VALU_DEP_1)
	v_fmac_f64_e32 v[14:15], s[4:5], v[4:5]
	s_wait_xcnt 0x0
	v_mov_b64_e32 v[2:3], v[14:15]
	v_add_f64_e64 v[14:15], v[20:21], -v[16:17]
	s_and_not1_b32 vcc_lo, exec_lo, s17
	s_mov_b32 s19, -1
	s_cbranch_vccz .LBB30_7
.LBB30_10:                              ;   in Loop: Header=BB30_4 Depth=1
	s_and_not1_b32 vcc_lo, exec_lo, s19
	s_cbranch_vccnz .LBB30_12
.LBB30_11:                              ;   in Loop: Header=BB30_4 Depth=1
	s_delay_alu instid0(VALU_DEP_1) | instskip(NEXT) | instid1(VALU_DEP_1)
	v_fmac_f64_e32 v[16:17], s[4:5], v[14:15]
	v_mov_b64_e32 v[4:5], v[16:17]
.LBB30_12:                              ;   in Loop: Header=BB30_4 Depth=1
	s_wait_loadcnt 0x0
	v_add_f64_e64 v[16:17], v[10:11], -v[6:7]
	s_and_not1_b32 vcc_lo, exec_lo, s17
	s_mov_b32 s19, -1
                                        ; implicit-def: $vgpr14_vgpr15
	s_cbranch_vccnz .LBB30_16
; %bb.13:                               ;   in Loop: Header=BB30_4 Depth=1
	s_delay_alu instid0(VALU_DEP_1)
	v_fma_f64 v[14:15], -v[24:25], v[16:17], v[10:11]
	s_cbranch_execz .LBB30_17
.LBB30_14:                              ;   in Loop: Header=BB30_4 Depth=1
	v_add_f64_e64 v[6:7], v[12:13], -v[8:9]
	s_and_not1_b32 vcc_lo, exec_lo, s17
	s_mov_b32 s19, -1
	s_cbranch_vccnz .LBB30_18
.LBB30_15:                              ;   in Loop: Header=BB30_4 Depth=1
	s_delay_alu instid0(VALU_DEP_1)
	v_fma_f64 v[16:17], -v[24:25], v[6:7], v[12:13]
	s_cbranch_execnz .LBB30_3
	s_branch .LBB30_19
.LBB30_16:                              ;   in Loop: Header=BB30_4 Depth=1
	s_and_not1_b32 vcc_lo, exec_lo, s19
	s_cbranch_vccnz .LBB30_14
.LBB30_17:                              ;   in Loop: Header=BB30_4 Depth=1
	s_delay_alu instid0(VALU_DEP_1) | instskip(NEXT) | instid1(VALU_DEP_1)
	v_fmac_f64_e32 v[6:7], s[4:5], v[16:17]
	v_mov_b64_e32 v[14:15], v[6:7]
	v_add_f64_e64 v[6:7], v[12:13], -v[8:9]
	s_and_not1_b32 vcc_lo, exec_lo, s17
	s_mov_b32 s19, -1
	s_cbranch_vccz .LBB30_15
.LBB30_18:                              ;   in Loop: Header=BB30_4 Depth=1
	s_and_not1_b32 vcc_lo, exec_lo, s19
	s_cbranch_vccnz .LBB30_3
.LBB30_19:                              ;   in Loop: Header=BB30_4 Depth=1
	s_delay_alu instid0(VALU_DEP_1) | instskip(NEXT) | instid1(VALU_DEP_1)
	v_fmac_f64_e32 v[8:9], s[4:5], v[6:7]
	v_mov_b64_e32 v[16:17], v[8:9]
	s_branch .LBB30_3
.LBB30_20:
	s_or_b32 exec_lo, exec_lo, s16
	s_mov_b32 s12, 0
.LBB30_21:
	s_delay_alu instid0(SALU_CYCLE_1)
	s_and_not1_b32 vcc_lo, exec_lo, s12
	s_cbranch_vccnz .LBB30_57
; %bb.22:
	v_cmp_lt_i64_e64 s12, s[10:11], 1
	s_and_b32 vcc_lo, exec_lo, s12
	s_cbranch_vccnz .LBB30_57
; %bb.23:
	s_load_b32 s0, s[0:1], 0xe54
	v_min_i64 v[2:3], 0x10000, s[10:11]
	v_min_u64 v[4:5], 0x10000, s[10:11]
	v_cmp_nlt_f64_e64 s14, |s[4:5]|, 0.5
	v_add_f64_e64 v[6:7], -s[4:5], 1.0
	v_dual_mov_b32 v1, 0 :: v_dual_lshlrev_b32 v12, 3, v0
	s_mov_b32 s11, 0
	s_delay_alu instid0(SALU_CYCLE_1) | instskip(NEXT) | instid1(VALU_DEP_1)
	s_mov_b32 s17, s11
	v_dual_mov_b32 v13, v1 :: v_dual_mov_b32 v29, v1
	s_wait_xcnt 0x0
	s_mov_b32 s1, s11
	s_mov_b32 s13, s11
	s_delay_alu instid0(VALU_DEP_1) | instskip(SKIP_2) | instid1(SALU_CYCLE_1)
	v_add_nc_u64_e32 v[8:9], s[2:3], v[12:13]
	s_wait_kmcnt 0x0
	s_and_b32 s10, s0, 0xffff
	v_add_nc_u64_e32 v[10:11], s[10:11], v[0:1]
	v_mad_nc_u64_u32 v[24:25], s10, 24, v[12:13]
	s_lshl_b32 s16, s10, 4
	s_mul_i32 s12, s10, 3
	v_add_nc_u64_e32 v[20:21], s[16:17], v[12:13]
	s_lshl_b32 s0, s10, 1
	v_add_nc_u64_e32 v[12:13], s[8:9], v[12:13]
	v_lshlrev_b32_e32 v28, 3, v10
	v_add_nc_u64_e32 v[14:15], s[12:13], v[0:1]
	v_add_nc_u64_e32 v[16:17], s[0:1], v[0:1]
	s_mov_b64 s[12:13], 0
	v_add_nc_u64_e32 v[18:19], s[2:3], v[20:21]
	v_add_nc_u64_e32 v[20:21], s[8:9], v[20:21]
	;; [unrolled: 1-line block ×6, first 2 shown]
	s_lshl_b32 s8, s10, 2
	s_mov_b32 s9, s11
	s_lshl_b32 s10, s10, 5
	s_branch .LBB30_25
.LBB30_24:                              ;   in Loop: Header=BB30_25 Depth=1
	s_wait_xcnt 0x0
	s_or_b32 exec_lo, exec_lo, s0
	s_add_nc_u64 s[12:13], s[12:13], s[8:9]
	v_add_nc_u64_e32 v[8:9], s[10:11], v[8:9]
	v_cmp_ge_i64_e32 vcc_lo, s[12:13], v[2:3]
	v_add_nc_u64_e32 v[12:13], s[10:11], v[12:13]
	v_add_nc_u64_e32 v[22:23], s[10:11], v[22:23]
	;; [unrolled: 1-line block ×7, first 2 shown]
	s_cbranch_vccnz .LBB30_57
.LBB30_25:                              ; =>This Inner Loop Header: Depth=1
	v_add_nc_u64_e32 v[30:31], s[12:13], v[0:1]
	v_mov_b64_e32 v[34:35], 0
	v_mov_b64_e32 v[46:47], 0
	;; [unrolled: 1-line block ×3, first 2 shown]
	s_delay_alu instid0(VALU_DEP_4)
	v_cmp_lt_u64_e64 s0, v[30:31], v[4:5]
	s_and_saveexec_b32 s1, s0
	s_cbranch_execz .LBB30_27
; %bb.26:                               ;   in Loop: Header=BB30_25 Depth=1
	v_add_nc_u64_e32 v[30:31], s[6:7], v[8:9]
	v_add_nc_u64_e32 v[32:33], s[6:7], v[12:13]
	global_load_b64 v[42:43], v[30:31], off
	global_load_b64 v[46:47], v[32:33], off
.LBB30_27:                              ;   in Loop: Header=BB30_25 Depth=1
	s_wait_xcnt 0x0
	s_or_b32 exec_lo, exec_lo, s1
	v_add_nc_u64_e32 v[30:31], s[12:13], v[10:11]
	v_mov_b64_e32 v[38:39], 0
	s_delay_alu instid0(VALU_DEP_2)
	v_cmp_lt_u64_e64 s1, v[30:31], v[4:5]
	s_and_saveexec_b32 s2, s1
	s_cbranch_execz .LBB30_29
; %bb.28:                               ;   in Loop: Header=BB30_25 Depth=1
	v_add_nc_u64_e32 v[30:31], s[6:7], v[26:27]
	v_add_nc_u64_e32 v[32:33], s[6:7], v[28:29]
	global_load_b64 v[38:39], v[30:31], off
	global_load_b64 v[34:35], v[32:33], off
.LBB30_29:                              ;   in Loop: Header=BB30_25 Depth=1
	s_wait_xcnt 0x0
	s_or_b32 exec_lo, exec_lo, s2
	v_add_nc_u64_e32 v[32:33], s[12:13], v[16:17]
	v_mov_b64_e32 v[30:31], 0
	v_mov_b64_e32 v[44:45], 0
	;; [unrolled: 1-line block ×3, first 2 shown]
	s_delay_alu instid0(VALU_DEP_4)
	v_cmp_lt_u64_e64 s2, v[32:33], v[4:5]
	s_and_saveexec_b32 s3, s2
	s_cbranch_execz .LBB30_31
; %bb.30:                               ;   in Loop: Header=BB30_25 Depth=1
	v_add_nc_u64_e32 v[32:33], s[6:7], v[18:19]
	v_add_nc_u64_e32 v[40:41], s[6:7], v[20:21]
	global_load_b64 v[36:37], v[32:33], off
	global_load_b64 v[44:45], v[40:41], off
.LBB30_31:                              ;   in Loop: Header=BB30_25 Depth=1
	s_wait_xcnt 0x0
	s_or_b32 exec_lo, exec_lo, s3
	v_add_nc_u64_e32 v[32:33], s[12:13], v[14:15]
	s_delay_alu instid0(VALU_DEP_1)
	v_cmp_lt_u64_e64 s3, v[32:33], v[4:5]
	v_mov_b64_e32 v[32:33], 0
	s_and_saveexec_b32 s15, s3
	s_cbranch_execz .LBB30_33
; %bb.32:                               ;   in Loop: Header=BB30_25 Depth=1
	v_add_nc_u64_e32 v[40:41], s[6:7], v[22:23]
	v_add_nc_u64_e32 v[48:49], s[6:7], v[24:25]
	global_load_b64 v[32:33], v[40:41], off
	global_load_b64 v[30:31], v[48:49], off
.LBB30_33:                              ;   in Loop: Header=BB30_25 Depth=1
	s_wait_xcnt 0x0
	s_or_b32 exec_lo, exec_lo, s15
	s_wait_loadcnt 0x0
	v_add_f64_e64 v[48:49], v[46:47], -v[42:43]
	s_and_b32 vcc_lo, exec_lo, s14
	s_mov_b32 s15, -1
                                        ; implicit-def: $vgpr40_vgpr41
	s_cbranch_vccz .LBB30_35
; %bb.34:                               ;   in Loop: Header=BB30_25 Depth=1
	s_delay_alu instid0(VALU_DEP_1)
	v_fma_f64 v[40:41], -v[6:7], v[48:49], v[46:47]
	s_cbranch_execnz .LBB30_37
	s_branch .LBB30_36
.LBB30_35:                              ;   in Loop: Header=BB30_25 Depth=1
	s_and_not1_b32 vcc_lo, exec_lo, s15
	s_cbranch_vccnz .LBB30_37
.LBB30_36:                              ;   in Loop: Header=BB30_25 Depth=1
	s_delay_alu instid0(VALU_DEP_1) | instskip(NEXT) | instid1(VALU_DEP_1)
	v_fmac_f64_e32 v[42:43], s[4:5], v[48:49]
	v_mov_b64_e32 v[40:41], v[42:43]
.LBB30_37:                              ;   in Loop: Header=BB30_25 Depth=1
	v_add_f64_e64 v[46:47], v[34:35], -v[38:39]
	s_and_not1_b32 vcc_lo, exec_lo, s14
	s_mov_b32 s15, -1
                                        ; implicit-def: $vgpr42_vgpr43
	s_cbranch_vccnz .LBB30_39
; %bb.38:                               ;   in Loop: Header=BB30_25 Depth=1
	s_delay_alu instid0(VALU_DEP_1)
	v_fma_f64 v[42:43], -v[6:7], v[46:47], v[34:35]
	s_cbranch_execnz .LBB30_41
	s_branch .LBB30_40
.LBB30_39:                              ;   in Loop: Header=BB30_25 Depth=1
	s_and_not1_b32 vcc_lo, exec_lo, s15
	s_cbranch_vccnz .LBB30_41
.LBB30_40:                              ;   in Loop: Header=BB30_25 Depth=1
	s_delay_alu instid0(VALU_DEP_1) | instskip(NEXT) | instid1(VALU_DEP_1)
	v_fmac_f64_e32 v[38:39], s[4:5], v[46:47]
	v_mov_b64_e32 v[42:43], v[38:39]
.LBB30_41:                              ;   in Loop: Header=BB30_25 Depth=1
	v_add_f64_e64 v[38:39], v[44:45], -v[36:37]
	s_and_not1_b32 vcc_lo, exec_lo, s14
	s_mov_b32 s15, -1
                                        ; implicit-def: $vgpr34_vgpr35
	s_cbranch_vccnz .LBB30_43
; %bb.42:                               ;   in Loop: Header=BB30_25 Depth=1
	s_delay_alu instid0(VALU_DEP_1)
	v_fma_f64 v[34:35], -v[6:7], v[38:39], v[44:45]
	s_cbranch_execnz .LBB30_45
	s_branch .LBB30_44
.LBB30_43:                              ;   in Loop: Header=BB30_25 Depth=1
	s_and_not1_b32 vcc_lo, exec_lo, s15
	s_cbranch_vccnz .LBB30_45
.LBB30_44:                              ;   in Loop: Header=BB30_25 Depth=1
	s_delay_alu instid0(VALU_DEP_1) | instskip(NEXT) | instid1(VALU_DEP_1)
	v_fmac_f64_e32 v[36:37], s[4:5], v[38:39]
	v_mov_b64_e32 v[34:35], v[36:37]
.LBB30_45:                              ;   in Loop: Header=BB30_25 Depth=1
	v_add_f64_e64 v[38:39], v[30:31], -v[32:33]
	s_and_not1_b32 vcc_lo, exec_lo, s14
	s_mov_b32 s15, -1
                                        ; implicit-def: $vgpr36_vgpr37
	s_cbranch_vccnz .LBB30_51
; %bb.46:                               ;   in Loop: Header=BB30_25 Depth=1
	s_delay_alu instid0(VALU_DEP_1)
	v_fma_f64 v[36:37], -v[6:7], v[38:39], v[30:31]
	s_cbranch_execz .LBB30_52
.LBB30_47:                              ;   in Loop: Header=BB30_25 Depth=1
	s_and_saveexec_b32 s15, s0
	s_delay_alu instid0(SALU_CYCLE_1)
	s_xor_b32 s0, exec_lo, s15
	s_cbranch_execz .LBB30_53
.LBB30_48:                              ;   in Loop: Header=BB30_25 Depth=1
	v_add_nc_u64_e32 v[30:31], s[6:7], v[8:9]
	global_store_b64 v[30:31], v[40:41], off
	s_wait_xcnt 0x0
	s_or_b32 exec_lo, exec_lo, s0
	s_and_saveexec_b32 s0, s1
	s_cbranch_execnz .LBB30_54
.LBB30_49:                              ;   in Loop: Header=BB30_25 Depth=1
	s_or_b32 exec_lo, exec_lo, s0
	s_and_saveexec_b32 s0, s2
	s_cbranch_execz .LBB30_55
.LBB30_50:                              ;   in Loop: Header=BB30_25 Depth=1
	v_add_nc_u64_e32 v[30:31], s[6:7], v[18:19]
	global_store_b64 v[30:31], v[34:35], off
	s_wait_xcnt 0x0
	s_or_b32 exec_lo, exec_lo, s0
	s_and_saveexec_b32 s0, s3
	s_cbranch_execz .LBB30_24
	s_branch .LBB30_56
.LBB30_51:                              ;   in Loop: Header=BB30_25 Depth=1
	s_and_not1_b32 vcc_lo, exec_lo, s15
	s_cbranch_vccnz .LBB30_47
.LBB30_52:                              ;   in Loop: Header=BB30_25 Depth=1
	s_delay_alu instid0(VALU_DEP_1) | instskip(NEXT) | instid1(VALU_DEP_1)
	v_fmac_f64_e32 v[32:33], s[4:5], v[38:39]
	v_mov_b64_e32 v[36:37], v[32:33]
	s_and_saveexec_b32 s15, s0
	s_delay_alu instid0(SALU_CYCLE_1)
	s_xor_b32 s0, exec_lo, s15
	s_cbranch_execnz .LBB30_48
.LBB30_53:                              ;   in Loop: Header=BB30_25 Depth=1
	s_or_b32 exec_lo, exec_lo, s0
	s_and_saveexec_b32 s0, s1
	s_cbranch_execz .LBB30_49
.LBB30_54:                              ;   in Loop: Header=BB30_25 Depth=1
	v_add_nc_u64_e32 v[30:31], s[6:7], v[26:27]
	global_store_b64 v[30:31], v[42:43], off
	s_wait_xcnt 0x0
	s_or_b32 exec_lo, exec_lo, s0
	s_and_saveexec_b32 s0, s2
	s_cbranch_execnz .LBB30_50
.LBB30_55:                              ;   in Loop: Header=BB30_25 Depth=1
	s_or_b32 exec_lo, exec_lo, s0
	s_and_saveexec_b32 s0, s3
	s_cbranch_execz .LBB30_24
.LBB30_56:                              ;   in Loop: Header=BB30_25 Depth=1
	v_add_nc_u64_e32 v[30:31], s[6:7], v[22:23]
	global_store_b64 v[30:31], v[36:37], off
	s_branch .LBB30_24
.LBB30_57:
	s_endpgm
	.section	.rodata,"a",@progbits
	.p2align	6, 0x0
	.amdhsa_kernel _ZN2at6native12_GLOBAL__N_125multi_tensor_apply_kernelINS1_28TensorListScalarListMetadataIdLi2EEENS1_26TernaryOpScalarListFunctorIdLi2ELi2ELi0EEEJNS0_11LerpFunctorIdEEEEEvT_T0_DpT1_
		.amdhsa_group_segment_fixed_size 0
		.amdhsa_private_segment_fixed_size 0
		.amdhsa_kernarg_size 3912
		.amdhsa_user_sgpr_count 2
		.amdhsa_user_sgpr_dispatch_ptr 0
		.amdhsa_user_sgpr_queue_ptr 0
		.amdhsa_user_sgpr_kernarg_segment_ptr 1
		.amdhsa_user_sgpr_dispatch_id 0
		.amdhsa_user_sgpr_kernarg_preload_length 0
		.amdhsa_user_sgpr_kernarg_preload_offset 0
		.amdhsa_user_sgpr_private_segment_size 0
		.amdhsa_wavefront_size32 1
		.amdhsa_uses_dynamic_stack 0
		.amdhsa_enable_private_segment 0
		.amdhsa_system_sgpr_workgroup_id_x 1
		.amdhsa_system_sgpr_workgroup_id_y 0
		.amdhsa_system_sgpr_workgroup_id_z 0
		.amdhsa_system_sgpr_workgroup_info 0
		.amdhsa_system_vgpr_workitem_id 0
		.amdhsa_next_free_vgpr 50
		.amdhsa_next_free_sgpr 22
		.amdhsa_named_barrier_count 0
		.amdhsa_reserve_vcc 1
		.amdhsa_float_round_mode_32 0
		.amdhsa_float_round_mode_16_64 0
		.amdhsa_float_denorm_mode_32 3
		.amdhsa_float_denorm_mode_16_64 3
		.amdhsa_fp16_overflow 0
		.amdhsa_memory_ordered 1
		.amdhsa_forward_progress 1
		.amdhsa_inst_pref_size 14
		.amdhsa_round_robin_scheduling 0
		.amdhsa_exception_fp_ieee_invalid_op 0
		.amdhsa_exception_fp_denorm_src 0
		.amdhsa_exception_fp_ieee_div_zero 0
		.amdhsa_exception_fp_ieee_overflow 0
		.amdhsa_exception_fp_ieee_underflow 0
		.amdhsa_exception_fp_ieee_inexact 0
		.amdhsa_exception_int_div_zero 0
	.end_amdhsa_kernel
	.section	.text._ZN2at6native12_GLOBAL__N_125multi_tensor_apply_kernelINS1_28TensorListScalarListMetadataIdLi2EEENS1_26TernaryOpScalarListFunctorIdLi2ELi2ELi0EEEJNS0_11LerpFunctorIdEEEEEvT_T0_DpT1_,"axG",@progbits,_ZN2at6native12_GLOBAL__N_125multi_tensor_apply_kernelINS1_28TensorListScalarListMetadataIdLi2EEENS1_26TernaryOpScalarListFunctorIdLi2ELi2ELi0EEEJNS0_11LerpFunctorIdEEEEEvT_T0_DpT1_,comdat
.Lfunc_end30:
	.size	_ZN2at6native12_GLOBAL__N_125multi_tensor_apply_kernelINS1_28TensorListScalarListMetadataIdLi2EEENS1_26TernaryOpScalarListFunctorIdLi2ELi2ELi0EEEJNS0_11LerpFunctorIdEEEEEvT_T0_DpT1_, .Lfunc_end30-_ZN2at6native12_GLOBAL__N_125multi_tensor_apply_kernelINS1_28TensorListScalarListMetadataIdLi2EEENS1_26TernaryOpScalarListFunctorIdLi2ELi2ELi0EEEJNS0_11LerpFunctorIdEEEEEvT_T0_DpT1_
                                        ; -- End function
	.set _ZN2at6native12_GLOBAL__N_125multi_tensor_apply_kernelINS1_28TensorListScalarListMetadataIdLi2EEENS1_26TernaryOpScalarListFunctorIdLi2ELi2ELi0EEEJNS0_11LerpFunctorIdEEEEEvT_T0_DpT1_.num_vgpr, 50
	.set _ZN2at6native12_GLOBAL__N_125multi_tensor_apply_kernelINS1_28TensorListScalarListMetadataIdLi2EEENS1_26TernaryOpScalarListFunctorIdLi2ELi2ELi0EEEJNS0_11LerpFunctorIdEEEEEvT_T0_DpT1_.num_agpr, 0
	.set _ZN2at6native12_GLOBAL__N_125multi_tensor_apply_kernelINS1_28TensorListScalarListMetadataIdLi2EEENS1_26TernaryOpScalarListFunctorIdLi2ELi2ELi0EEEJNS0_11LerpFunctorIdEEEEEvT_T0_DpT1_.numbered_sgpr, 22
	.set _ZN2at6native12_GLOBAL__N_125multi_tensor_apply_kernelINS1_28TensorListScalarListMetadataIdLi2EEENS1_26TernaryOpScalarListFunctorIdLi2ELi2ELi0EEEJNS0_11LerpFunctorIdEEEEEvT_T0_DpT1_.num_named_barrier, 0
	.set _ZN2at6native12_GLOBAL__N_125multi_tensor_apply_kernelINS1_28TensorListScalarListMetadataIdLi2EEENS1_26TernaryOpScalarListFunctorIdLi2ELi2ELi0EEEJNS0_11LerpFunctorIdEEEEEvT_T0_DpT1_.private_seg_size, 0
	.set _ZN2at6native12_GLOBAL__N_125multi_tensor_apply_kernelINS1_28TensorListScalarListMetadataIdLi2EEENS1_26TernaryOpScalarListFunctorIdLi2ELi2ELi0EEEJNS0_11LerpFunctorIdEEEEEvT_T0_DpT1_.uses_vcc, 1
	.set _ZN2at6native12_GLOBAL__N_125multi_tensor_apply_kernelINS1_28TensorListScalarListMetadataIdLi2EEENS1_26TernaryOpScalarListFunctorIdLi2ELi2ELi0EEEJNS0_11LerpFunctorIdEEEEEvT_T0_DpT1_.uses_flat_scratch, 0
	.set _ZN2at6native12_GLOBAL__N_125multi_tensor_apply_kernelINS1_28TensorListScalarListMetadataIdLi2EEENS1_26TernaryOpScalarListFunctorIdLi2ELi2ELi0EEEJNS0_11LerpFunctorIdEEEEEvT_T0_DpT1_.has_dyn_sized_stack, 0
	.set _ZN2at6native12_GLOBAL__N_125multi_tensor_apply_kernelINS1_28TensorListScalarListMetadataIdLi2EEENS1_26TernaryOpScalarListFunctorIdLi2ELi2ELi0EEEJNS0_11LerpFunctorIdEEEEEvT_T0_DpT1_.has_recursion, 0
	.set _ZN2at6native12_GLOBAL__N_125multi_tensor_apply_kernelINS1_28TensorListScalarListMetadataIdLi2EEENS1_26TernaryOpScalarListFunctorIdLi2ELi2ELi0EEEJNS0_11LerpFunctorIdEEEEEvT_T0_DpT1_.has_indirect_call, 0
	.section	.AMDGPU.csdata,"",@progbits
; Kernel info:
; codeLenInByte = 1724
; TotalNumSgprs: 24
; NumVgprs: 50
; ScratchSize: 0
; MemoryBound: 1
; FloatMode: 240
; IeeeMode: 1
; LDSByteSize: 0 bytes/workgroup (compile time only)
; SGPRBlocks: 0
; VGPRBlocks: 3
; NumSGPRsForWavesPerEU: 24
; NumVGPRsForWavesPerEU: 50
; NamedBarCnt: 0
; Occupancy: 16
; WaveLimiterHint : 1
; COMPUTE_PGM_RSRC2:SCRATCH_EN: 0
; COMPUTE_PGM_RSRC2:USER_SGPR: 2
; COMPUTE_PGM_RSRC2:TRAP_HANDLER: 0
; COMPUTE_PGM_RSRC2:TGID_X_EN: 1
; COMPUTE_PGM_RSRC2:TGID_Y_EN: 0
; COMPUTE_PGM_RSRC2:TGID_Z_EN: 0
; COMPUTE_PGM_RSRC2:TIDIG_COMP_CNT: 0
	.section	.text._ZN2at6native12_GLOBAL__N_125multi_tensor_apply_kernelINS1_28TensorListScalarListMetadataIfLi2EEENS1_26TernaryOpScalarListFunctorIfLi2ELi2ELi0EEEJNS0_11LerpFunctorIfEEEEEvT_T0_DpT1_,"axG",@progbits,_ZN2at6native12_GLOBAL__N_125multi_tensor_apply_kernelINS1_28TensorListScalarListMetadataIfLi2EEENS1_26TernaryOpScalarListFunctorIfLi2ELi2ELi0EEEJNS0_11LerpFunctorIfEEEEEvT_T0_DpT1_,comdat
	.globl	_ZN2at6native12_GLOBAL__N_125multi_tensor_apply_kernelINS1_28TensorListScalarListMetadataIfLi2EEENS1_26TernaryOpScalarListFunctorIfLi2ELi2ELi0EEEJNS0_11LerpFunctorIfEEEEEvT_T0_DpT1_ ; -- Begin function _ZN2at6native12_GLOBAL__N_125multi_tensor_apply_kernelINS1_28TensorListScalarListMetadataIfLi2EEENS1_26TernaryOpScalarListFunctorIfLi2ELi2ELi0EEEJNS0_11LerpFunctorIfEEEEEvT_T0_DpT1_
	.p2align	8
	.type	_ZN2at6native12_GLOBAL__N_125multi_tensor_apply_kernelINS1_28TensorListScalarListMetadataIfLi2EEENS1_26TernaryOpScalarListFunctorIfLi2ELi2ELi0EEEJNS0_11LerpFunctorIfEEEEEvT_T0_DpT1_,@function
_ZN2at6native12_GLOBAL__N_125multi_tensor_apply_kernelINS1_28TensorListScalarListMetadataIfLi2EEENS1_26TernaryOpScalarListFunctorIfLi2ELi2ELi0EEEJNS0_11LerpFunctorIfEEEEEvT_T0_DpT1_: ; @_ZN2at6native12_GLOBAL__N_125multi_tensor_apply_kernelINS1_28TensorListScalarListMetadataIfLi2EEENS1_26TernaryOpScalarListFunctorIfLi2ELi2ELi0EEEJNS0_11LerpFunctorIfEEEEEvT_T0_DpT1_
; %bb.0:
	s_bfe_u32 s2, ttmp6, 0x4000c
	s_and_b32 s3, ttmp6, 15
	s_add_co_i32 s2, s2, 1
	s_getreg_b32 s4, hwreg(HW_REG_IB_STS2, 6, 4)
	s_mul_i32 s2, ttmp9, s2
	s_delay_alu instid0(SALU_CYCLE_1)
	s_add_co_i32 s3, s3, s2
	s_cmp_eq_u32 s4, 0
	s_cselect_b32 s2, ttmp9, s3
	s_mov_b32 s3, 0
	s_load_u8 s13, s[0:1], s2 offset:0x700
	s_add_nc_u64 s[4:5], s[0:1], s[2:3]
	s_mul_u64 s[6:7], s[2:3], 3
	s_mov_b32 s17, s3
	s_add_nc_u64 s[4:5], s[4:5], s[6:7]
	s_load_b32 s12, s[4:5], 0x840
	s_wait_kmcnt 0x0
	s_clause 0x2
	s_load_b64 s[8:9], s[0:1], s13 offset:0x0 scale_offset
	s_load_b64 s[10:11], s[0:1], s13 offset:0x200 scale_offset
	;; [unrolled: 1-line block ×3, first 2 shown]
	s_mov_b32 s5, s3
	s_lshl_b32 s2, s13, 3
	s_lshl_b32 s4, s13, 2
	s_add_nc_u64 s[6:7], s[0:1], s[2:3]
	s_sub_nc_u64 s[4:5], 0, s[4:5]
	s_delay_alu instid0(SALU_CYCLE_1) | instskip(SKIP_3) | instid1(SALU_CYCLE_1)
	s_add_nc_u64 s[4:5], s[6:7], s[4:5]
	s_load_b32 s4, s[4:5], 0x600
	s_wait_xcnt 0x0
	s_ashr_i32 s13, s12, 31
	s_lshl_b64 s[6:7], s[12:13], 18
	s_wait_kmcnt 0x0
	s_and_b32 s2, s10, 15
	s_add_nc_u64 s[18:19], s[8:9], s[6:7]
	s_and_b32 s16, s14, 3
	s_and_b64 s[18:19], s[18:19], 15
	s_or_b64 s[2:3], s[2:3], s[16:17]
	s_lshl_b64 s[12:13], s[12:13], 16
	s_or_b64 s[2:3], s[2:3], s[18:19]
	s_sub_nc_u64 s[12:13], s[14:15], s[12:13]
	s_cmp_eq_u64 s[2:3], 0
	s_mov_b32 s2, -1
	s_cbranch_scc0 .LBB31_5
; %bb.1:
	v_min_i64 v[2:3], 0x10000, s[12:13]
	v_dual_mov_b32 v7, 0 :: v_dual_lshlrev_b32 v6, 2, v0
	s_mov_b32 s3, exec_lo
	s_delay_alu instid0(VALU_DEP_1)
	v_cmpx_lt_i64_e64 v[6:7], v[2:3]
	s_cbranch_execz .LBB31_4
; %bb.2:
	s_load_b32 s2, s[0:1], 0xd54
	s_sub_f32 s18, 1.0, s4
	v_dual_mov_b32 v1, v7 :: v_dual_lshlrev_b32 v6, 4, v0
	s_and_b32 s14, s4, 0x7fffffff
	s_mov_b32 s5, s4
	s_mov_b32 s19, s18
	s_cmp_lt_f32 s14, 0.5
	v_mov_b64_e32 v[4:5], s[4:5]
	v_add_nc_u64_e32 v[6:7], s[6:7], v[6:7]
	v_mov_b64_e32 v[8:9], v[0:1]
	v_mov_b64_e32 v[10:11], s[18:19]
	s_mov_b32 s15, 0
	s_cselect_b32 vcc_lo, -1, 0
	s_add_nc_u64 s[16:17], s[8:9], 8
	s_mov_b32 s19, s15
	s_mov_b32 s5, s15
	s_wait_kmcnt 0x0
	s_and_b32 s14, s2, 0xffff
	s_delay_alu instid0(SALU_CYCLE_1)
	s_lshl_b32 s18, s14, 4
.LBB31_3:                               ; =>This Inner Loop Header: Depth=1
	v_add_nc_u64_e32 v[20:21], s[16:17], v[6:7]
	v_add_nc_u64_e32 v[22:23], s[10:11], v[6:7]
	;; [unrolled: 1-line block ×4, first 2 shown]
	global_load_b128 v[12:15], v[20:21], off offset:-8
	global_load_b128 v[16:19], v[22:23], off
	s_wait_xcnt 0x0
	v_lshlrev_b64_e32 v[22:23], 2, v[8:9]
	s_delay_alu instid0(VALU_DEP_1) | instskip(SKIP_4) | instid1(VALU_DEP_2)
	v_cmp_ge_i64_e64 s2, v[22:23], v[2:3]
	s_or_b32 s5, s2, s5
	s_wait_loadcnt 0x0
	v_pk_add_f32 v[24:25], v[16:17], v[12:13] neg_lo:[0,1] neg_hi:[0,1]
	v_pk_add_f32 v[26:27], v[18:19], v[14:15] neg_lo:[0,1] neg_hi:[0,1]
	v_pk_fma_f32 v[12:13], v[4:5], v[24:25], v[12:13]
	v_pk_fma_f32 v[16:17], v[10:11], v[24:25], v[16:17] neg_lo:[1,0,0] neg_hi:[1,0,0]
	s_delay_alu instid0(VALU_DEP_3) | instskip(SKIP_1) | instid1(VALU_DEP_3)
	v_pk_fma_f32 v[14:15], v[4:5], v[26:27], v[14:15]
	v_pk_fma_f32 v[18:19], v[10:11], v[26:27], v[18:19] neg_lo:[1,0,0] neg_hi:[1,0,0]
	v_dual_cndmask_b32 v13, v17, v13 :: v_dual_cndmask_b32 v12, v16, v12
	s_delay_alu instid0(VALU_DEP_2)
	v_dual_cndmask_b32 v15, v19, v15 :: v_dual_cndmask_b32 v14, v18, v14
	global_store_b128 v[20:21], v[12:15], off offset:-8
	s_wait_xcnt 0x0
	s_and_not1_b32 exec_lo, exec_lo, s5
	s_cbranch_execnz .LBB31_3
.LBB31_4:
	s_or_b32 exec_lo, exec_lo, s3
	s_mov_b32 s2, 0
.LBB31_5:
	s_delay_alu instid0(SALU_CYCLE_1)
	s_and_not1_b32 vcc_lo, exec_lo, s2
	s_cbranch_vccnz .LBB31_25
; %bb.6:
	v_cmp_lt_i64_e64 s2, s[12:13], 1
	s_and_b32 vcc_lo, exec_lo, s2
	s_cbranch_vccnz .LBB31_25
; %bb.7:
	s_load_b32 s0, s[0:1], 0xd54
	v_min_i64 v[2:3], 0x10000, s[12:13]
	v_min_u64 v[4:5], 0x10000, s[12:13]
	v_dual_mov_b32 v1, 0 :: v_dual_lshlrev_b32 v12, 2, v0
	s_wait_xcnt 0x0
	s_and_b32 s1, s4, 0x7fffffff
	s_mov_b32 s3, 0
	s_sub_f32 s5, 1.0, s4
	v_dual_mov_b32 v13, v1 :: v_dual_mov_b32 v27, v1
	s_mov_b32 s17, s3
	s_mov_b32 s13, s3
	;; [unrolled: 1-line block ×3, first 2 shown]
	s_delay_alu instid0(VALU_DEP_1) | instskip(SKIP_3) | instid1(SALU_CYCLE_1)
	v_add_nc_u64_e32 v[8:9], s[8:9], v[12:13]
	v_add_nc_u64_e32 v[10:11], s[10:11], v[12:13]
	s_wait_kmcnt 0x0
	s_and_b32 s2, s0, 0xffff
	s_lshl_b32 s12, s2, 1
	s_cmp_lt_f32 s1, 0.5
	v_add_nc_u64_e32 v[6:7], s[2:3], v[0:1]
	v_mad_nc_u64_u32 v[18:19], s2, 12, v[12:13]
	s_mul_i32 s14, s2, 3
	s_cselect_b32 s0, -1, 0
	s_lshl_b32 s16, s2, 3
	v_add_nc_u64_e32 v[14:15], s[12:13], v[0:1]
	v_add_nc_u64_e32 v[24:25], s[16:17], v[12:13]
	v_lshlrev_b32_e32 v26, 2, v6
	v_add_nc_u64_e32 v[12:13], s[14:15], v[0:1]
	s_mov_b64 s[12:13], 0
	v_add_nc_u64_e32 v[16:17], s[8:9], v[18:19]
	v_add_nc_u64_e32 v[18:19], s[10:11], v[18:19]
	v_add_nc_u64_e32 v[20:21], s[8:9], v[26:27]
	v_add_nc_u64_e32 v[22:23], s[8:9], v[24:25]
	v_add_nc_u64_e32 v[24:25], s[10:11], v[24:25]
	v_add_nc_u64_e32 v[26:27], s[10:11], v[26:27]
	s_lshl_b32 s8, s2, 2
	s_mov_b32 s9, s3
	s_lshl_b32 s10, s2, 4
	s_mov_b32 s11, s3
	s_branch .LBB31_9
.LBB31_8:                               ;   in Loop: Header=BB31_9 Depth=1
	s_wait_xcnt 0x0
	s_or_b32 exec_lo, exec_lo, s1
	s_add_nc_u64 s[12:13], s[12:13], s[8:9]
	v_add_nc_u64_e32 v[8:9], s[10:11], v[8:9]
	v_cmp_ge_i64_e32 vcc_lo, s[12:13], v[2:3]
	v_add_nc_u64_e32 v[10:11], s[10:11], v[10:11]
	v_add_nc_u64_e32 v[16:17], s[10:11], v[16:17]
	;; [unrolled: 1-line block ×7, first 2 shown]
	s_cbranch_vccnz .LBB31_25
.LBB31_9:                               ; =>This Inner Loop Header: Depth=1
	s_wait_loadcnt 0x0
	v_add_nc_u64_e32 v[28:29], s[12:13], v[0:1]
	v_mov_b32_e32 v30, 0
	s_delay_alu instid0(VALU_DEP_2)
	v_cmp_lt_u64_e32 vcc_lo, v[28:29], v[4:5]
	v_mov_b32_e32 v29, 0
	s_and_saveexec_b32 s1, vcc_lo
	s_cbranch_execz .LBB31_11
; %bb.10:                               ;   in Loop: Header=BB31_9 Depth=1
	v_add_nc_u64_e32 v[32:33], s[6:7], v[8:9]
	v_add_nc_u64_e32 v[34:35], s[6:7], v[10:11]
	global_load_b32 v29, v[32:33], off
	global_load_b32 v30, v[34:35], off
.LBB31_11:                              ;   in Loop: Header=BB31_9 Depth=1
	s_wait_xcnt 0x0
	s_or_b32 exec_lo, exec_lo, s1
	v_add_nc_u64_e32 v[32:33], s[12:13], v[6:7]
	v_dual_mov_b32 v28, 0 :: v_dual_mov_b32 v31, 0
	s_delay_alu instid0(VALU_DEP_2)
	v_cmp_lt_u64_e64 s1, v[32:33], v[4:5]
	v_mov_b32_e32 v32, 0
	s_and_saveexec_b32 s2, s1
	s_cbranch_execz .LBB31_13
; %bb.12:                               ;   in Loop: Header=BB31_9 Depth=1
	v_add_nc_u64_e32 v[34:35], s[6:7], v[20:21]
	v_add_nc_u64_e32 v[36:37], s[6:7], v[26:27]
	global_load_b32 v31, v[34:35], off
	global_load_b32 v32, v[36:37], off
.LBB31_13:                              ;   in Loop: Header=BB31_9 Depth=1
	s_wait_xcnt 0x0
	s_or_b32 exec_lo, exec_lo, s2
	v_add_nc_u64_e32 v[34:35], s[12:13], v[14:15]
	v_mov_b32_e32 v33, 0
	s_delay_alu instid0(VALU_DEP_2)
	v_cmp_lt_u64_e64 s2, v[34:35], v[4:5]
	s_and_saveexec_b32 s3, s2
	s_cbranch_execz .LBB31_15
; %bb.14:                               ;   in Loop: Header=BB31_9 Depth=1
	v_add_nc_u64_e32 v[34:35], s[6:7], v[22:23]
	v_add_nc_u64_e32 v[36:37], s[6:7], v[24:25]
	global_load_b32 v33, v[34:35], off
	global_load_b32 v28, v[36:37], off
.LBB31_15:                              ;   in Loop: Header=BB31_9 Depth=1
	s_wait_xcnt 0x0
	s_or_b32 exec_lo, exec_lo, s3
	v_add_nc_u64_e32 v[34:35], s[12:13], v[12:13]
	s_delay_alu instid0(VALU_DEP_1)
	v_cmp_lt_u64_e64 s3, v[34:35], v[4:5]
	v_dual_mov_b32 v35, 0 :: v_dual_mov_b32 v34, 0
	s_and_saveexec_b32 s14, s3
	s_cbranch_execnz .LBB31_20
; %bb.16:                               ;   in Loop: Header=BB31_9 Depth=1
	s_or_b32 exec_lo, exec_lo, s14
	s_and_saveexec_b32 s14, vcc_lo
	s_cbranch_execnz .LBB31_21
.LBB31_17:                              ;   in Loop: Header=BB31_9 Depth=1
	s_or_b32 exec_lo, exec_lo, s14
	s_and_saveexec_b32 s14, s1
	s_cbranch_execnz .LBB31_22
.LBB31_18:                              ;   in Loop: Header=BB31_9 Depth=1
	s_or_b32 exec_lo, exec_lo, s14
	s_and_saveexec_b32 s1, s2
	s_cbranch_execnz .LBB31_23
.LBB31_19:                              ;   in Loop: Header=BB31_9 Depth=1
	s_or_b32 exec_lo, exec_lo, s1
	s_and_saveexec_b32 s1, s3
	s_cbranch_execz .LBB31_8
	s_branch .LBB31_24
.LBB31_20:                              ;   in Loop: Header=BB31_9 Depth=1
	v_add_nc_u64_e32 v[36:37], s[6:7], v[16:17]
	v_add_nc_u64_e32 v[38:39], s[6:7], v[18:19]
	global_load_b32 v34, v[36:37], off
	global_load_b32 v35, v[38:39], off
	s_wait_xcnt 0x0
	s_or_b32 exec_lo, exec_lo, s14
	s_and_saveexec_b32 s14, vcc_lo
	s_cbranch_execz .LBB31_17
.LBB31_21:                              ;   in Loop: Header=BB31_9 Depth=1
	s_wait_loadcnt 0x0
	v_sub_f32_e32 v36, v30, v29
	s_delay_alu instid0(VALU_DEP_1) | instskip(SKIP_1) | instid1(VALU_DEP_2)
	v_dual_fmac_f32 v29, s4, v36 :: v_dual_fma_f32 v30, -s5, v36, v30
	v_add_nc_u64_e32 v[36:37], s[6:7], v[8:9]
	v_cndmask_b32_e64 v29, v30, v29, s0
	global_store_b32 v[36:37], v29, off
	s_wait_xcnt 0x0
	s_or_b32 exec_lo, exec_lo, s14
	s_and_saveexec_b32 s14, s1
	s_cbranch_execz .LBB31_18
.LBB31_22:                              ;   in Loop: Header=BB31_9 Depth=1
	s_wait_loadcnt 0x0
	v_sub_f32_e32 v29, v32, v31
	v_add_nc_u64_e32 v[36:37], s[6:7], v[20:21]
	s_delay_alu instid0(VALU_DEP_2) | instskip(NEXT) | instid1(VALU_DEP_1)
	v_dual_fmac_f32 v31, s4, v29 :: v_dual_fma_f32 v29, -s5, v29, v32
	v_cndmask_b32_e64 v29, v29, v31, s0
	global_store_b32 v[36:37], v29, off
	s_wait_xcnt 0x0
	s_or_b32 exec_lo, exec_lo, s14
	s_and_saveexec_b32 s1, s2
	s_cbranch_execz .LBB31_19
.LBB31_23:                              ;   in Loop: Header=BB31_9 Depth=1
	s_wait_loadcnt 0x0
	v_sub_f32_e32 v29, v28, v33
	s_delay_alu instid0(VALU_DEP_1) | instskip(SKIP_1) | instid1(VALU_DEP_2)
	v_dual_fmac_f32 v33, s4, v29 :: v_dual_fma_f32 v30, -s5, v29, v28
	v_add_nc_u64_e32 v[28:29], s[6:7], v[22:23]
	v_cndmask_b32_e64 v30, v30, v33, s0
	global_store_b32 v[28:29], v30, off
	s_wait_xcnt 0x0
	s_or_b32 exec_lo, exec_lo, s1
	s_and_saveexec_b32 s1, s3
	s_cbranch_execz .LBB31_8
.LBB31_24:                              ;   in Loop: Header=BB31_9 Depth=1
	s_wait_loadcnt 0x0
	v_sub_f32_e32 v28, v35, v34
	s_delay_alu instid0(VALU_DEP_1) | instskip(SKIP_1) | instid1(VALU_DEP_2)
	v_dual_fmac_f32 v34, s4, v28 :: v_dual_fma_f32 v30, -s5, v28, v35
	v_add_nc_u64_e32 v[28:29], s[6:7], v[16:17]
	v_cndmask_b32_e64 v30, v30, v34, s0
	global_store_b32 v[28:29], v30, off
	s_branch .LBB31_8
.LBB31_25:
	s_endpgm
	.section	.rodata,"a",@progbits
	.p2align	6, 0x0
	.amdhsa_kernel _ZN2at6native12_GLOBAL__N_125multi_tensor_apply_kernelINS1_28TensorListScalarListMetadataIfLi2EEENS1_26TernaryOpScalarListFunctorIfLi2ELi2ELi0EEEJNS0_11LerpFunctorIfEEEEEvT_T0_DpT1_
		.amdhsa_group_segment_fixed_size 0
		.amdhsa_private_segment_fixed_size 0
		.amdhsa_kernarg_size 3656
		.amdhsa_user_sgpr_count 2
		.amdhsa_user_sgpr_dispatch_ptr 0
		.amdhsa_user_sgpr_queue_ptr 0
		.amdhsa_user_sgpr_kernarg_segment_ptr 1
		.amdhsa_user_sgpr_dispatch_id 0
		.amdhsa_user_sgpr_kernarg_preload_length 0
		.amdhsa_user_sgpr_kernarg_preload_offset 0
		.amdhsa_user_sgpr_private_segment_size 0
		.amdhsa_wavefront_size32 1
		.amdhsa_uses_dynamic_stack 0
		.amdhsa_enable_private_segment 0
		.amdhsa_system_sgpr_workgroup_id_x 1
		.amdhsa_system_sgpr_workgroup_id_y 0
		.amdhsa_system_sgpr_workgroup_id_z 0
		.amdhsa_system_sgpr_workgroup_info 0
		.amdhsa_system_vgpr_workitem_id 0
		.amdhsa_next_free_vgpr 40
		.amdhsa_next_free_sgpr 20
		.amdhsa_named_barrier_count 0
		.amdhsa_reserve_vcc 1
		.amdhsa_float_round_mode_32 0
		.amdhsa_float_round_mode_16_64 0
		.amdhsa_float_denorm_mode_32 3
		.amdhsa_float_denorm_mode_16_64 3
		.amdhsa_fp16_overflow 0
		.amdhsa_memory_ordered 1
		.amdhsa_forward_progress 1
		.amdhsa_inst_pref_size 11
		.amdhsa_round_robin_scheduling 0
		.amdhsa_exception_fp_ieee_invalid_op 0
		.amdhsa_exception_fp_denorm_src 0
		.amdhsa_exception_fp_ieee_div_zero 0
		.amdhsa_exception_fp_ieee_overflow 0
		.amdhsa_exception_fp_ieee_underflow 0
		.amdhsa_exception_fp_ieee_inexact 0
		.amdhsa_exception_int_div_zero 0
	.end_amdhsa_kernel
	.section	.text._ZN2at6native12_GLOBAL__N_125multi_tensor_apply_kernelINS1_28TensorListScalarListMetadataIfLi2EEENS1_26TernaryOpScalarListFunctorIfLi2ELi2ELi0EEEJNS0_11LerpFunctorIfEEEEEvT_T0_DpT1_,"axG",@progbits,_ZN2at6native12_GLOBAL__N_125multi_tensor_apply_kernelINS1_28TensorListScalarListMetadataIfLi2EEENS1_26TernaryOpScalarListFunctorIfLi2ELi2ELi0EEEJNS0_11LerpFunctorIfEEEEEvT_T0_DpT1_,comdat
.Lfunc_end31:
	.size	_ZN2at6native12_GLOBAL__N_125multi_tensor_apply_kernelINS1_28TensorListScalarListMetadataIfLi2EEENS1_26TernaryOpScalarListFunctorIfLi2ELi2ELi0EEEJNS0_11LerpFunctorIfEEEEEvT_T0_DpT1_, .Lfunc_end31-_ZN2at6native12_GLOBAL__N_125multi_tensor_apply_kernelINS1_28TensorListScalarListMetadataIfLi2EEENS1_26TernaryOpScalarListFunctorIfLi2ELi2ELi0EEEJNS0_11LerpFunctorIfEEEEEvT_T0_DpT1_
                                        ; -- End function
	.set _ZN2at6native12_GLOBAL__N_125multi_tensor_apply_kernelINS1_28TensorListScalarListMetadataIfLi2EEENS1_26TernaryOpScalarListFunctorIfLi2ELi2ELi0EEEJNS0_11LerpFunctorIfEEEEEvT_T0_DpT1_.num_vgpr, 40
	.set _ZN2at6native12_GLOBAL__N_125multi_tensor_apply_kernelINS1_28TensorListScalarListMetadataIfLi2EEENS1_26TernaryOpScalarListFunctorIfLi2ELi2ELi0EEEJNS0_11LerpFunctorIfEEEEEvT_T0_DpT1_.num_agpr, 0
	.set _ZN2at6native12_GLOBAL__N_125multi_tensor_apply_kernelINS1_28TensorListScalarListMetadataIfLi2EEENS1_26TernaryOpScalarListFunctorIfLi2ELi2ELi0EEEJNS0_11LerpFunctorIfEEEEEvT_T0_DpT1_.numbered_sgpr, 20
	.set _ZN2at6native12_GLOBAL__N_125multi_tensor_apply_kernelINS1_28TensorListScalarListMetadataIfLi2EEENS1_26TernaryOpScalarListFunctorIfLi2ELi2ELi0EEEJNS0_11LerpFunctorIfEEEEEvT_T0_DpT1_.num_named_barrier, 0
	.set _ZN2at6native12_GLOBAL__N_125multi_tensor_apply_kernelINS1_28TensorListScalarListMetadataIfLi2EEENS1_26TernaryOpScalarListFunctorIfLi2ELi2ELi0EEEJNS0_11LerpFunctorIfEEEEEvT_T0_DpT1_.private_seg_size, 0
	.set _ZN2at6native12_GLOBAL__N_125multi_tensor_apply_kernelINS1_28TensorListScalarListMetadataIfLi2EEENS1_26TernaryOpScalarListFunctorIfLi2ELi2ELi0EEEJNS0_11LerpFunctorIfEEEEEvT_T0_DpT1_.uses_vcc, 1
	.set _ZN2at6native12_GLOBAL__N_125multi_tensor_apply_kernelINS1_28TensorListScalarListMetadataIfLi2EEENS1_26TernaryOpScalarListFunctorIfLi2ELi2ELi0EEEJNS0_11LerpFunctorIfEEEEEvT_T0_DpT1_.uses_flat_scratch, 0
	.set _ZN2at6native12_GLOBAL__N_125multi_tensor_apply_kernelINS1_28TensorListScalarListMetadataIfLi2EEENS1_26TernaryOpScalarListFunctorIfLi2ELi2ELi0EEEJNS0_11LerpFunctorIfEEEEEvT_T0_DpT1_.has_dyn_sized_stack, 0
	.set _ZN2at6native12_GLOBAL__N_125multi_tensor_apply_kernelINS1_28TensorListScalarListMetadataIfLi2EEENS1_26TernaryOpScalarListFunctorIfLi2ELi2ELi0EEEJNS0_11LerpFunctorIfEEEEEvT_T0_DpT1_.has_recursion, 0
	.set _ZN2at6native12_GLOBAL__N_125multi_tensor_apply_kernelINS1_28TensorListScalarListMetadataIfLi2EEENS1_26TernaryOpScalarListFunctorIfLi2ELi2ELi0EEEJNS0_11LerpFunctorIfEEEEEvT_T0_DpT1_.has_indirect_call, 0
	.section	.AMDGPU.csdata,"",@progbits
; Kernel info:
; codeLenInByte = 1392
; TotalNumSgprs: 22
; NumVgprs: 40
; ScratchSize: 0
; MemoryBound: 0
; FloatMode: 240
; IeeeMode: 1
; LDSByteSize: 0 bytes/workgroup (compile time only)
; SGPRBlocks: 0
; VGPRBlocks: 2
; NumSGPRsForWavesPerEU: 22
; NumVGPRsForWavesPerEU: 40
; NamedBarCnt: 0
; Occupancy: 16
; WaveLimiterHint : 0
; COMPUTE_PGM_RSRC2:SCRATCH_EN: 0
; COMPUTE_PGM_RSRC2:USER_SGPR: 2
; COMPUTE_PGM_RSRC2:TRAP_HANDLER: 0
; COMPUTE_PGM_RSRC2:TGID_X_EN: 1
; COMPUTE_PGM_RSRC2:TGID_Y_EN: 0
; COMPUTE_PGM_RSRC2:TGID_Z_EN: 0
; COMPUTE_PGM_RSRC2:TIDIG_COMP_CNT: 0
	.section	.text._ZN2at6native12_GLOBAL__N_125multi_tensor_apply_kernelINS1_28TensorListScalarListMetadataIN3c107complexIdEELi2EEENS1_26TernaryOpScalarListFunctorIS6_Li2ELi2ELi0EEEJNS0_11LerpFunctorIS6_EEEEEvT_T0_DpT1_,"axG",@progbits,_ZN2at6native12_GLOBAL__N_125multi_tensor_apply_kernelINS1_28TensorListScalarListMetadataIN3c107complexIdEELi2EEENS1_26TernaryOpScalarListFunctorIS6_Li2ELi2ELi0EEEJNS0_11LerpFunctorIS6_EEEEEvT_T0_DpT1_,comdat
	.globl	_ZN2at6native12_GLOBAL__N_125multi_tensor_apply_kernelINS1_28TensorListScalarListMetadataIN3c107complexIdEELi2EEENS1_26TernaryOpScalarListFunctorIS6_Li2ELi2ELi0EEEJNS0_11LerpFunctorIS6_EEEEEvT_T0_DpT1_ ; -- Begin function _ZN2at6native12_GLOBAL__N_125multi_tensor_apply_kernelINS1_28TensorListScalarListMetadataIN3c107complexIdEELi2EEENS1_26TernaryOpScalarListFunctorIS6_Li2ELi2ELi0EEEJNS0_11LerpFunctorIS6_EEEEEvT_T0_DpT1_
	.p2align	8
	.type	_ZN2at6native12_GLOBAL__N_125multi_tensor_apply_kernelINS1_28TensorListScalarListMetadataIN3c107complexIdEELi2EEENS1_26TernaryOpScalarListFunctorIS6_Li2ELi2ELi0EEEJNS0_11LerpFunctorIS6_EEEEEvT_T0_DpT1_,@function
_ZN2at6native12_GLOBAL__N_125multi_tensor_apply_kernelINS1_28TensorListScalarListMetadataIN3c107complexIdEELi2EEENS1_26TernaryOpScalarListFunctorIS6_Li2ELi2ELi0EEEJNS0_11LerpFunctorIS6_EEEEEvT_T0_DpT1_: ; @_ZN2at6native12_GLOBAL__N_125multi_tensor_apply_kernelINS1_28TensorListScalarListMetadataIN3c107complexIdEELi2EEENS1_26TernaryOpScalarListFunctorIS6_Li2ELi2ELi0EEEJNS0_11LerpFunctorIS6_EEEEEvT_T0_DpT1_
; %bb.0:
	s_bfe_u32 s2, ttmp6, 0x4000c
	s_and_b32 s3, ttmp6, 15
	s_add_co_i32 s2, s2, 1
	s_getreg_b32 s4, hwreg(HW_REG_IB_STS2, 6, 4)
	s_mul_i32 s2, ttmp9, s2
	s_delay_alu instid0(SALU_CYCLE_1)
	s_add_co_i32 s3, s3, s2
	s_cmp_eq_u32 s4, 0
	s_cselect_b32 s2, ttmp9, s3
	s_mov_b32 s3, 0
	s_load_u8 s8, s[0:1], s2 offset:0x960
	s_add_nc_u64 s[4:5], s[0:1], s[2:3]
	s_mul_u64 s[6:7], s[2:3], 3
	s_delay_alu instid0(SALU_CYCLE_1)
	s_add_nc_u64 s[4:5], s[4:5], s[6:7]
	s_load_b32 s14, s[4:5], 0xaa0
	s_wait_kmcnt 0x0
	s_clause 0x2
	s_load_b64 s[6:7], s[0:1], s8 offset:0x0 scale_offset
	s_load_b64 s[12:13], s[0:1], s8 offset:0x1e0 scale_offset
	;; [unrolled: 1-line block ×3, first 2 shown]
	s_lshl_b32 s2, s8, 3
	s_delay_alu instid0(SALU_CYCLE_1)
	s_add_nc_u64 s[4:5], s[0:1], s[2:3]
	s_wait_xcnt 0x0
	s_load_b128 s[8:11], s[4:5], s2 offset:0x5a0
	s_ashr_i32 s15, s14, 31
	s_wait_xcnt 0x0
	s_lshl_b64 s[4:5], s[14:15], 20
	s_wait_kmcnt 0x0
	s_and_b32 s2, s16, 3
	s_add_nc_u64 s[12:13], s[12:13], s[4:5]
	s_add_nc_u64 s[6:7], s[6:7], s[4:5]
	s_and_b64 s[18:19], s[12:13], 63
	s_and_b32 s4, s6, 63
	s_mov_b32 s5, s3
	s_or_b64 s[2:3], s[18:19], s[2:3]
	s_lshl_b64 s[14:15], s[14:15], 16
	s_or_b64 s[2:3], s[2:3], s[4:5]
	s_sub_nc_u64 s[4:5], s[16:17], s[14:15]
	s_cmp_eq_u64 s[2:3], 0
	s_mov_b32 s2, -1
	s_cbranch_scc0 .LBB32_21
; %bb.1:
	v_min_i64 v[38:39], 0x10000, s[4:5]
	v_dual_mov_b32 v41, 0 :: v_dual_lshlrev_b32 v40, 2, v0
	s_mov_b32 s3, exec_lo
	s_delay_alu instid0(VALU_DEP_1)
	v_cmpx_lt_i64_e64 v[40:41], v[38:39]
	s_cbranch_execz .LBB32_20
; %bb.2:
	v_mul_f64_e64 v[2:3], s[10:11], s[10:11]
	v_add_f64_e64 v[42:43], -s[8:9], 1.0
	v_add_f64_e64 v[44:45], -s[10:11], 0
	s_load_b32 s14, s[0:1], 0xfb4
	v_dual_mov_b32 v1, v41 :: v_dual_lshlrev_b32 v40, 6, v0
	s_mov_b32 s15, 0
	s_mov_b64 s[18:19], s[6:7]
	s_mov_b32 s17, s15
	s_delay_alu instid0(VALU_DEP_1) | instskip(SKIP_4) | instid1(SALU_CYCLE_1)
	v_mov_b64_e32 v[46:47], v[0:1]
	s_mov_b32 s22, s15
	s_mov_b64 s[20:21], s[12:13]
	s_wait_kmcnt 0x0
	s_and_b32 s14, s14, 0xffff
	s_lshl_b32 s16, s14, 6
	v_fmac_f64_e64 v[2:3], s[8:9], s[8:9]
	s_delay_alu instid0(VALU_DEP_1)
	v_cmp_ngt_f64_e64 s2, 0x3fd00000, v[2:3]
	s_branch .LBB32_4
.LBB32_3:                               ;   in Loop: Header=BB32_4 Depth=1
	v_add_nc_u64_e32 v[46:47], s[14:15], v[46:47]
	s_add_nc_u64 s[20:21], s[20:21], s[16:17]
	s_add_nc_u64 s[18:19], s[18:19], s[16:17]
	s_clause 0x3
	global_store_b128 v[48:49], v[2:5], off
	global_store_b128 v[48:49], v[18:21], off offset:16
	global_store_b128 v[48:49], v[26:29], off offset:32
	;; [unrolled: 1-line block ×3, first 2 shown]
	v_lshlrev_b64_e32 v[6:7], 2, v[46:47]
	s_delay_alu instid0(VALU_DEP_1)
	v_cmp_ge_i64_e32 vcc_lo, v[6:7], v[38:39]
	s_or_b32 s22, vcc_lo, s22
	s_wait_xcnt 0x0
	s_and_not1_b32 exec_lo, exec_lo, s22
	s_cbranch_execz .LBB32_20
.LBB32_4:                               ; =>This Inner Loop Header: Depth=1
	v_add_nc_u64_e32 v[2:3], s[20:21], v[40:41]
	v_add_nc_u64_e32 v[48:49], s[18:19], v[40:41]
	s_delay_alu instid0(VALU_DEP_3)
	s_and_b32 vcc_lo, exec_lo, s2
	s_mov_b32 s23, -1
	global_load_b128 v[34:37], v[2:3], off
	s_clause 0x1
	global_load_b128 v[18:21], v[48:49], off
	global_load_b128 v[26:29], v[48:49], off offset:16
	global_load_b128 v[30:33], v[2:3], off offset:16
	s_clause 0x1
	global_load_b128 v[6:9], v[48:49], off offset:48
	global_load_b128 v[14:17], v[48:49], off offset:32
	s_clause 0x1
	global_load_b128 v[10:13], v[2:3], off offset:48
	global_load_b128 v[22:25], v[2:3], off offset:32
                                        ; implicit-def: $vgpr4_vgpr5
	s_wait_loadcnt 0x6
	v_add_f64_e64 v[50:51], v[34:35], -v[18:19]
	v_add_f64_e64 v[52:53], v[36:37], -v[20:21]
	s_cbranch_vccz .LBB32_6
; %bb.5:                                ;   in Loop: Header=BB32_4 Depth=1
	s_wait_xcnt 0x0
	s_delay_alu instid0(VALU_DEP_1) | instskip(SKIP_2) | instid1(VALU_DEP_2)
	v_mul_f64_e32 v[2:3], v[44:45], v[52:53]
	v_mul_f64_e32 v[4:5], v[42:43], v[52:53]
	s_mov_b32 s23, 0
	v_fma_f64 v[2:3], v[42:43], v[50:51], -v[2:3]
	s_delay_alu instid0(VALU_DEP_2) | instskip(NEXT) | instid1(VALU_DEP_2)
	v_fmac_f64_e32 v[4:5], v[44:45], v[50:51]
	v_add_f64_e64 v[2:3], v[34:35], -v[2:3]
	s_delay_alu instid0(VALU_DEP_2)
	v_add_f64_e64 v[4:5], v[36:37], -v[4:5]
.LBB32_6:                               ;   in Loop: Header=BB32_4 Depth=1
	s_and_not1_b32 vcc_lo, exec_lo, s23
	s_cbranch_vccnz .LBB32_8
; %bb.7:                                ;   in Loop: Header=BB32_4 Depth=1
	s_wait_xcnt 0x0
	s_delay_alu instid0(VALU_DEP_1) | instskip(SKIP_1) | instid1(VALU_DEP_2)
	v_mul_f64_e32 v[2:3], s[10:11], v[52:53]
	v_mul_f64_e32 v[4:5], s[8:9], v[52:53]
	v_fma_f64 v[2:3], s[8:9], v[50:51], -v[2:3]
	s_delay_alu instid0(VALU_DEP_2) | instskip(NEXT) | instid1(VALU_DEP_2)
	v_fmac_f64_e32 v[4:5], s[10:11], v[50:51]
	v_add_f64_e32 v[2:3], v[18:19], v[2:3]
	s_delay_alu instid0(VALU_DEP_2)
	v_add_f64_e32 v[4:5], v[20:21], v[4:5]
.LBB32_8:                               ;   in Loop: Header=BB32_4 Depth=1
	s_wait_loadcnt 0x4
	v_add_f64_e64 v[34:35], v[30:31], -v[26:27]
	v_add_f64_e64 v[36:37], v[32:33], -v[28:29]
	s_and_not1_b32 vcc_lo, exec_lo, s2
	s_mov_b32 s23, -1
                                        ; implicit-def: $vgpr20_vgpr21
	s_cbranch_vccnz .LBB32_10
; %bb.9:                                ;   in Loop: Header=BB32_4 Depth=1
	s_delay_alu instid0(VALU_DEP_1) | instskip(SKIP_2) | instid1(VALU_DEP_2)
	v_mul_f64_e32 v[18:19], v[44:45], v[36:37]
	v_mul_f64_e32 v[20:21], v[42:43], v[36:37]
	s_mov_b32 s23, 0
	v_fma_f64 v[18:19], v[42:43], v[34:35], -v[18:19]
	s_delay_alu instid0(VALU_DEP_2) | instskip(NEXT) | instid1(VALU_DEP_2)
	v_fmac_f64_e32 v[20:21], v[44:45], v[34:35]
	v_add_f64_e64 v[18:19], v[30:31], -v[18:19]
	s_delay_alu instid0(VALU_DEP_2)
	v_add_f64_e64 v[20:21], v[32:33], -v[20:21]
.LBB32_10:                              ;   in Loop: Header=BB32_4 Depth=1
	s_and_not1_b32 vcc_lo, exec_lo, s23
	s_cbranch_vccnz .LBB32_12
; %bb.11:                               ;   in Loop: Header=BB32_4 Depth=1
	s_delay_alu instid0(VALU_DEP_1) | instskip(SKIP_1) | instid1(VALU_DEP_2)
	v_mul_f64_e32 v[18:19], s[10:11], v[36:37]
	v_mul_f64_e32 v[20:21], s[8:9], v[36:37]
	v_fma_f64 v[18:19], s[8:9], v[34:35], -v[18:19]
	s_delay_alu instid0(VALU_DEP_2) | instskip(NEXT) | instid1(VALU_DEP_2)
	v_fmac_f64_e32 v[20:21], s[10:11], v[34:35]
	v_add_f64_e32 v[18:19], v[26:27], v[18:19]
	s_delay_alu instid0(VALU_DEP_2)
	v_add_f64_e32 v[20:21], v[28:29], v[20:21]
.LBB32_12:                              ;   in Loop: Header=BB32_4 Depth=1
	s_wait_loadcnt 0x0
	v_add_f64_e64 v[30:31], v[22:23], -v[14:15]
	v_add_f64_e64 v[32:33], v[24:25], -v[16:17]
	s_and_not1_b32 vcc_lo, exec_lo, s2
	s_mov_b32 s23, -1
                                        ; implicit-def: $vgpr28_vgpr29
	s_cbranch_vccnz .LBB32_14
; %bb.13:                               ;   in Loop: Header=BB32_4 Depth=1
	s_delay_alu instid0(VALU_DEP_1) | instskip(SKIP_2) | instid1(VALU_DEP_2)
	v_mul_f64_e32 v[26:27], v[44:45], v[32:33]
	v_mul_f64_e32 v[28:29], v[42:43], v[32:33]
	s_mov_b32 s23, 0
	v_fma_f64 v[26:27], v[42:43], v[30:31], -v[26:27]
	s_delay_alu instid0(VALU_DEP_2) | instskip(NEXT) | instid1(VALU_DEP_2)
	v_fmac_f64_e32 v[28:29], v[44:45], v[30:31]
	v_add_f64_e64 v[26:27], v[22:23], -v[26:27]
	s_delay_alu instid0(VALU_DEP_2)
	v_add_f64_e64 v[28:29], v[24:25], -v[28:29]
.LBB32_14:                              ;   in Loop: Header=BB32_4 Depth=1
	s_and_not1_b32 vcc_lo, exec_lo, s23
	s_cbranch_vccnz .LBB32_16
; %bb.15:                               ;   in Loop: Header=BB32_4 Depth=1
	s_delay_alu instid0(VALU_DEP_1) | instskip(SKIP_1) | instid1(VALU_DEP_2)
	v_mul_f64_e32 v[22:23], s[10:11], v[32:33]
	v_mul_f64_e32 v[24:25], s[8:9], v[32:33]
	v_fma_f64 v[22:23], s[8:9], v[30:31], -v[22:23]
	s_delay_alu instid0(VALU_DEP_2) | instskip(NEXT) | instid1(VALU_DEP_2)
	v_fmac_f64_e32 v[24:25], s[10:11], v[30:31]
	v_add_f64_e32 v[26:27], v[14:15], v[22:23]
	s_delay_alu instid0(VALU_DEP_2)
	v_add_f64_e32 v[28:29], v[16:17], v[24:25]
.LBB32_16:                              ;   in Loop: Header=BB32_4 Depth=1
	v_add_f64_e64 v[22:23], v[10:11], -v[6:7]
	v_add_f64_e64 v[24:25], v[12:13], -v[8:9]
	s_and_not1_b32 vcc_lo, exec_lo, s2
	s_mov_b32 s23, -1
                                        ; implicit-def: $vgpr16_vgpr17
	s_cbranch_vccnz .LBB32_18
; %bb.17:                               ;   in Loop: Header=BB32_4 Depth=1
	s_delay_alu instid0(VALU_DEP_1) | instskip(SKIP_2) | instid1(VALU_DEP_2)
	v_mul_f64_e32 v[14:15], v[44:45], v[24:25]
	v_mul_f64_e32 v[16:17], v[42:43], v[24:25]
	s_mov_b32 s23, 0
	v_fma_f64 v[14:15], v[42:43], v[22:23], -v[14:15]
	s_delay_alu instid0(VALU_DEP_2) | instskip(NEXT) | instid1(VALU_DEP_2)
	v_fmac_f64_e32 v[16:17], v[44:45], v[22:23]
	v_add_f64_e64 v[14:15], v[10:11], -v[14:15]
	s_delay_alu instid0(VALU_DEP_2)
	v_add_f64_e64 v[16:17], v[12:13], -v[16:17]
.LBB32_18:                              ;   in Loop: Header=BB32_4 Depth=1
	s_and_not1_b32 vcc_lo, exec_lo, s23
	s_cbranch_vccnz .LBB32_3
; %bb.19:                               ;   in Loop: Header=BB32_4 Depth=1
	s_delay_alu instid0(VALU_DEP_1) | instskip(SKIP_1) | instid1(VALU_DEP_2)
	v_mul_f64_e32 v[10:11], s[10:11], v[24:25]
	v_mul_f64_e32 v[12:13], s[8:9], v[24:25]
	v_fma_f64 v[10:11], s[8:9], v[22:23], -v[10:11]
	s_delay_alu instid0(VALU_DEP_2) | instskip(NEXT) | instid1(VALU_DEP_2)
	v_fmac_f64_e32 v[12:13], s[10:11], v[22:23]
	v_add_f64_e32 v[14:15], v[6:7], v[10:11]
	s_delay_alu instid0(VALU_DEP_2)
	v_add_f64_e32 v[16:17], v[8:9], v[12:13]
	s_branch .LBB32_3
.LBB32_20:
	s_or_b32 exec_lo, exec_lo, s3
	s_mov_b32 s2, 0
.LBB32_21:
	s_delay_alu instid0(SALU_CYCLE_1)
	s_and_not1_b32 vcc_lo, exec_lo, s2
	s_cbranch_vccnz .LBB32_57
; %bb.22:
	v_cmp_lt_i64_e64 s2, s[4:5], 1
	s_and_b32 vcc_lo, exec_lo, s2
	s_cbranch_vccnz .LBB32_57
; %bb.23:
	v_mul_f64_e64 v[2:3], s[10:11], s[10:11]
	v_min_i64 v[38:39], 0x10000, s[4:5]
	v_min_u64 v[40:41], 0x10000, s[4:5]
	v_add_f64_e64 v[42:43], -s[8:9], 1.0
	v_add_f64_e64 v[44:45], -s[10:11], 0
	s_load_b32 s0, s[0:1], 0xfb4
	v_mov_b32_e32 v1, 0
	s_mov_b32 s15, 0
	s_mov_b64 s[20:21], 0
	s_mov_b32 s17, s15
	s_mov_b32 s19, s15
	;; [unrolled: 1-line block ×3, first 2 shown]
	s_wait_kmcnt 0x0
	s_and_b32 s14, s0, 0xffff
	s_delay_alu instid0(SALU_CYCLE_1) | instskip(SKIP_3) | instid1(VALU_DEP_1)
	s_lshl_b32 s16, s14, 1
	s_mul_i32 s18, s14, 3
	s_lshl_b32 s22, s14, 2
	v_fmac_f64_e64 v[2:3], s[8:9], s[8:9]
	v_cmp_ngt_f64_e64 s2, 0x3fd00000, v[2:3]
	s_branch .LBB32_25
.LBB32_24:                              ;   in Loop: Header=BB32_25 Depth=1
	s_wait_xcnt 0x0
	s_or_b32 exec_lo, exec_lo, s0
	s_add_nc_u64 s[20:21], s[20:21], s[22:23]
	s_delay_alu instid0(SALU_CYCLE_1)
	v_cmp_ge_i64_e32 vcc_lo, s[20:21], v[38:39]
	s_cbranch_vccnz .LBB32_57
.LBB32_25:                              ; =>This Inner Loop Header: Depth=1
	v_add_nc_u64_e32 v[46:47], s[20:21], v[0:1]
	v_mov_b64_e32 v[8:9], 0
	v_mov_b64_e32 v[36:37], 0
	;; [unrolled: 1-line block ×5, first 2 shown]
	v_cmp_lt_u64_e64 s0, v[46:47], v[40:41]
	s_and_saveexec_b32 s1, s0
	s_cbranch_execz .LBB32_27
; %bb.26:                               ;   in Loop: Header=BB32_25 Depth=1
	v_lshlrev_b64_e32 v[2:3], 4, v[46:47]
	s_delay_alu instid0(VALU_DEP_1)
	v_add_nc_u64_e32 v[4:5], s[6:7], v[2:3]
	v_add_nc_u64_e32 v[2:3], s[12:13], v[2:3]
	global_load_b128 v[22:25], v[4:5], off
	global_load_b128 v[34:37], v[2:3], off
.LBB32_27:                              ;   in Loop: Header=BB32_25 Depth=1
	s_wait_xcnt 0x0
	s_or_b32 exec_lo, exec_lo, s1
	v_add_nc_u64_e32 v[48:49], s[14:15], v[46:47]
	v_mov_b64_e32 v[6:7], 0
	v_mov_b64_e32 v[20:21], 0
	;; [unrolled: 1-line block ×3, first 2 shown]
	s_delay_alu instid0(VALU_DEP_4)
	v_cmp_lt_u64_e64 s1, v[48:49], v[40:41]
	s_and_saveexec_b32 s3, s1
	s_cbranch_execz .LBB32_29
; %bb.28:                               ;   in Loop: Header=BB32_25 Depth=1
	v_lshlrev_b64_e32 v[2:3], 4, v[48:49]
	s_delay_alu instid0(VALU_DEP_1)
	v_add_nc_u64_e32 v[4:5], s[6:7], v[2:3]
	v_add_nc_u64_e32 v[2:3], s[12:13], v[2:3]
	global_load_b128 v[18:21], v[4:5], off
	global_load_b128 v[6:9], v[2:3], off
.LBB32_29:                              ;   in Loop: Header=BB32_25 Depth=1
	s_wait_xcnt 0x0
	s_or_b32 exec_lo, exec_lo, s3
	v_add_nc_u64_e32 v[50:51], s[16:17], v[46:47]
	v_mov_b64_e32 v[4:5], 0
	v_mov_b64_e32 v[28:29], 0
	;; [unrolled: 1-line block ×5, first 2 shown]
	v_cmp_lt_u64_e64 s3, v[50:51], v[40:41]
	s_and_saveexec_b32 s4, s3
	s_cbranch_execz .LBB32_31
; %bb.30:                               ;   in Loop: Header=BB32_25 Depth=1
	v_lshlrev_b64_e32 v[2:3], 4, v[50:51]
	s_delay_alu instid0(VALU_DEP_1)
	v_add_nc_u64_e32 v[10:11], s[6:7], v[2:3]
	v_add_nc_u64_e32 v[2:3], s[12:13], v[2:3]
	global_load_b128 v[14:17], v[10:11], off
	global_load_b128 v[26:29], v[2:3], off
.LBB32_31:                              ;   in Loop: Header=BB32_25 Depth=1
	s_wait_xcnt 0x0
	s_or_b32 exec_lo, exec_lo, s4
	v_add_nc_u64_e32 v[52:53], s[18:19], v[46:47]
	v_mov_b64_e32 v[2:3], 0
	v_mov_b64_e32 v[12:13], 0
	;; [unrolled: 1-line block ×3, first 2 shown]
	s_delay_alu instid0(VALU_DEP_4)
	v_cmp_lt_u64_e64 s4, v[52:53], v[40:41]
	s_and_saveexec_b32 s5, s4
	s_cbranch_execz .LBB32_33
; %bb.32:                               ;   in Loop: Header=BB32_25 Depth=1
	v_lshlrev_b64_e32 v[2:3], 4, v[52:53]
	s_delay_alu instid0(VALU_DEP_1)
	v_add_nc_u64_e32 v[30:31], s[6:7], v[2:3]
	v_add_nc_u64_e32 v[32:33], s[12:13], v[2:3]
	global_load_b128 v[10:13], v[30:31], off
	global_load_b128 v[2:5], v[32:33], off
.LBB32_33:                              ;   in Loop: Header=BB32_25 Depth=1
	s_wait_xcnt 0x0
	s_or_b32 exec_lo, exec_lo, s5
	s_wait_loadcnt 0x0
	v_add_f64_e64 v[56:57], v[34:35], -v[22:23]
	v_add_f64_e64 v[54:55], v[36:37], -v[24:25]
	s_and_b32 vcc_lo, exec_lo, s2
	s_mov_b32 s5, -1
                                        ; implicit-def: $vgpr32_vgpr33
	s_cbranch_vccz .LBB32_35
; %bb.34:                               ;   in Loop: Header=BB32_25 Depth=1
	s_delay_alu instid0(VALU_DEP_1) | instskip(NEXT) | instid1(VALU_DEP_3)
	v_mul_f64_e32 v[30:31], v[44:45], v[54:55]
	v_mul_f64_e32 v[32:33], v[44:45], v[56:57]
	s_mov_b32 s5, 0
	s_delay_alu instid0(VALU_DEP_2) | instskip(NEXT) | instid1(VALU_DEP_2)
	v_fma_f64 v[30:31], v[42:43], v[56:57], -v[30:31]
	v_fmac_f64_e32 v[32:33], v[42:43], v[54:55]
	s_delay_alu instid0(VALU_DEP_2) | instskip(NEXT) | instid1(VALU_DEP_2)
	v_add_f64_e64 v[30:31], v[34:35], -v[30:31]
	v_add_f64_e64 v[32:33], v[36:37], -v[32:33]
.LBB32_35:                              ;   in Loop: Header=BB32_25 Depth=1
	s_and_not1_b32 vcc_lo, exec_lo, s5
	s_cbranch_vccnz .LBB32_37
; %bb.36:                               ;   in Loop: Header=BB32_25 Depth=1
	s_delay_alu instid0(VALU_DEP_1) | instskip(NEXT) | instid1(VALU_DEP_3)
	v_mul_f64_e32 v[30:31], s[10:11], v[54:55]
	v_mul_f64_e32 v[32:33], s[10:11], v[56:57]
	s_delay_alu instid0(VALU_DEP_2) | instskip(NEXT) | instid1(VALU_DEP_2)
	v_fma_f64 v[30:31], s[8:9], v[56:57], -v[30:31]
	v_fmac_f64_e32 v[32:33], s[8:9], v[54:55]
	s_delay_alu instid0(VALU_DEP_2) | instskip(NEXT) | instid1(VALU_DEP_2)
	v_add_f64_e32 v[30:31], v[22:23], v[30:31]
	v_add_f64_e32 v[32:33], v[24:25], v[32:33]
.LBB32_37:                              ;   in Loop: Header=BB32_25 Depth=1
	v_add_f64_e64 v[36:37], v[6:7], -v[18:19]
	v_add_f64_e64 v[34:35], v[8:9], -v[20:21]
	s_and_not1_b32 vcc_lo, exec_lo, s2
	s_mov_b32 s5, -1
                                        ; implicit-def: $vgpr24_vgpr25
	s_cbranch_vccnz .LBB32_39
; %bb.38:                               ;   in Loop: Header=BB32_25 Depth=1
	s_delay_alu instid0(VALU_DEP_1) | instskip(NEXT) | instid1(VALU_DEP_3)
	v_mul_f64_e32 v[22:23], v[44:45], v[34:35]
	v_mul_f64_e32 v[24:25], v[44:45], v[36:37]
	s_mov_b32 s5, 0
	s_delay_alu instid0(VALU_DEP_2) | instskip(NEXT) | instid1(VALU_DEP_2)
	v_fma_f64 v[22:23], v[42:43], v[36:37], -v[22:23]
	v_fmac_f64_e32 v[24:25], v[42:43], v[34:35]
	s_delay_alu instid0(VALU_DEP_2) | instskip(NEXT) | instid1(VALU_DEP_2)
	v_add_f64_e64 v[22:23], v[6:7], -v[22:23]
	v_add_f64_e64 v[24:25], v[8:9], -v[24:25]
.LBB32_39:                              ;   in Loop: Header=BB32_25 Depth=1
	s_and_not1_b32 vcc_lo, exec_lo, s5
	s_cbranch_vccnz .LBB32_41
; %bb.40:                               ;   in Loop: Header=BB32_25 Depth=1
	s_delay_alu instid0(VALU_DEP_1) | instskip(NEXT) | instid1(VALU_DEP_3)
	v_mul_f64_e32 v[6:7], s[10:11], v[34:35]
	v_mul_f64_e32 v[8:9], s[10:11], v[36:37]
	s_delay_alu instid0(VALU_DEP_2) | instskip(NEXT) | instid1(VALU_DEP_2)
	v_fma_f64 v[6:7], s[8:9], v[36:37], -v[6:7]
	v_fmac_f64_e32 v[8:9], s[8:9], v[34:35]
	s_delay_alu instid0(VALU_DEP_2) | instskip(NEXT) | instid1(VALU_DEP_2)
	v_add_f64_e32 v[22:23], v[18:19], v[6:7]
	v_add_f64_e32 v[24:25], v[20:21], v[8:9]
.LBB32_41:                              ;   in Loop: Header=BB32_25 Depth=1
	v_add_f64_e64 v[20:21], v[26:27], -v[14:15]
	v_add_f64_e64 v[18:19], v[28:29], -v[16:17]
	s_and_not1_b32 vcc_lo, exec_lo, s2
	s_mov_b32 s5, -1
                                        ; implicit-def: $vgpr8_vgpr9
	s_cbranch_vccnz .LBB32_43
; %bb.42:                               ;   in Loop: Header=BB32_25 Depth=1
	s_delay_alu instid0(VALU_DEP_1) | instskip(NEXT) | instid1(VALU_DEP_3)
	v_mul_f64_e32 v[6:7], v[44:45], v[18:19]
	v_mul_f64_e32 v[8:9], v[44:45], v[20:21]
	s_mov_b32 s5, 0
	s_delay_alu instid0(VALU_DEP_2) | instskip(NEXT) | instid1(VALU_DEP_2)
	v_fma_f64 v[6:7], v[42:43], v[20:21], -v[6:7]
	v_fmac_f64_e32 v[8:9], v[42:43], v[18:19]
	s_delay_alu instid0(VALU_DEP_2) | instskip(NEXT) | instid1(VALU_DEP_2)
	v_add_f64_e64 v[6:7], v[26:27], -v[6:7]
	v_add_f64_e64 v[8:9], v[28:29], -v[8:9]
.LBB32_43:                              ;   in Loop: Header=BB32_25 Depth=1
	s_and_not1_b32 vcc_lo, exec_lo, s5
	s_cbranch_vccnz .LBB32_45
; %bb.44:                               ;   in Loop: Header=BB32_25 Depth=1
	s_delay_alu instid0(VALU_DEP_1) | instskip(NEXT) | instid1(VALU_DEP_3)
	v_mul_f64_e32 v[6:7], s[10:11], v[18:19]
	v_mul_f64_e32 v[8:9], s[10:11], v[20:21]
	s_delay_alu instid0(VALU_DEP_2) | instskip(NEXT) | instid1(VALU_DEP_2)
	v_fma_f64 v[6:7], s[8:9], v[20:21], -v[6:7]
	v_fmac_f64_e32 v[8:9], s[8:9], v[18:19]
	s_delay_alu instid0(VALU_DEP_2) | instskip(NEXT) | instid1(VALU_DEP_2)
	v_add_f64_e32 v[6:7], v[14:15], v[6:7]
	v_add_f64_e32 v[8:9], v[16:17], v[8:9]
.LBB32_45:                              ;   in Loop: Header=BB32_25 Depth=1
	v_add_f64_e64 v[20:21], v[2:3], -v[10:11]
	v_add_f64_e64 v[18:19], v[4:5], -v[12:13]
	s_and_not1_b32 vcc_lo, exec_lo, s2
	s_mov_b32 s5, -1
                                        ; implicit-def: $vgpr16_vgpr17
	s_cbranch_vccz .LBB32_51
; %bb.46:                               ;   in Loop: Header=BB32_25 Depth=1
	s_and_not1_b32 vcc_lo, exec_lo, s5
	s_cbranch_vccz .LBB32_52
.LBB32_47:                              ;   in Loop: Header=BB32_25 Depth=1
	s_and_saveexec_b32 s5, s0
	s_delay_alu instid0(SALU_CYCLE_1)
	s_xor_b32 s0, exec_lo, s5
	s_cbranch_execnz .LBB32_53
.LBB32_48:                              ;   in Loop: Header=BB32_25 Depth=1
	s_or_b32 exec_lo, exec_lo, s0
	s_and_saveexec_b32 s0, s1
	s_cbranch_execnz .LBB32_54
.LBB32_49:                              ;   in Loop: Header=BB32_25 Depth=1
	s_or_b32 exec_lo, exec_lo, s0
	s_and_saveexec_b32 s0, s3
	s_cbranch_execnz .LBB32_55
.LBB32_50:                              ;   in Loop: Header=BB32_25 Depth=1
	s_or_b32 exec_lo, exec_lo, s0
	s_and_saveexec_b32 s0, s4
	s_cbranch_execz .LBB32_24
	s_branch .LBB32_56
.LBB32_51:                              ;   in Loop: Header=BB32_25 Depth=1
	s_delay_alu instid0(VALU_DEP_1) | instskip(NEXT) | instid1(VALU_DEP_3)
	v_mul_f64_e32 v[14:15], v[44:45], v[18:19]
	v_mul_f64_e32 v[16:17], v[44:45], v[20:21]
	s_delay_alu instid0(VALU_DEP_2) | instskip(NEXT) | instid1(VALU_DEP_2)
	v_fma_f64 v[14:15], v[42:43], v[20:21], -v[14:15]
	v_fmac_f64_e32 v[16:17], v[42:43], v[18:19]
	s_delay_alu instid0(VALU_DEP_2) | instskip(NEXT) | instid1(VALU_DEP_2)
	v_add_f64_e64 v[14:15], v[2:3], -v[14:15]
	v_add_f64_e64 v[16:17], v[4:5], -v[16:17]
	s_cbranch_execnz .LBB32_47
.LBB32_52:                              ;   in Loop: Header=BB32_25 Depth=1
	s_delay_alu instid0(VALU_DEP_1) | instskip(NEXT) | instid1(VALU_DEP_3)
	v_mul_f64_e32 v[2:3], s[10:11], v[18:19]
	v_mul_f64_e32 v[4:5], s[10:11], v[20:21]
	s_delay_alu instid0(VALU_DEP_2) | instskip(NEXT) | instid1(VALU_DEP_2)
	v_fma_f64 v[2:3], s[8:9], v[20:21], -v[2:3]
	v_fmac_f64_e32 v[4:5], s[8:9], v[18:19]
	s_delay_alu instid0(VALU_DEP_2) | instskip(NEXT) | instid1(VALU_DEP_2)
	v_add_f64_e32 v[14:15], v[10:11], v[2:3]
	v_add_f64_e32 v[16:17], v[12:13], v[4:5]
	s_and_saveexec_b32 s5, s0
	s_delay_alu instid0(SALU_CYCLE_1)
	s_xor_b32 s0, exec_lo, s5
	s_cbranch_execz .LBB32_48
.LBB32_53:                              ;   in Loop: Header=BB32_25 Depth=1
	v_lshl_add_u64 v[2:3], v[46:47], 4, s[6:7]
	global_store_b128 v[2:3], v[30:33], off
	s_wait_xcnt 0x0
	s_or_b32 exec_lo, exec_lo, s0
	s_and_saveexec_b32 s0, s1
	s_cbranch_execz .LBB32_49
.LBB32_54:                              ;   in Loop: Header=BB32_25 Depth=1
	v_lshl_add_u64 v[2:3], v[48:49], 4, s[6:7]
	global_store_b128 v[2:3], v[22:25], off
	s_wait_xcnt 0x0
	s_or_b32 exec_lo, exec_lo, s0
	s_and_saveexec_b32 s0, s3
	s_cbranch_execz .LBB32_50
.LBB32_55:                              ;   in Loop: Header=BB32_25 Depth=1
	v_lshl_add_u64 v[2:3], v[50:51], 4, s[6:7]
	global_store_b128 v[2:3], v[6:9], off
	s_wait_xcnt 0x0
	s_or_b32 exec_lo, exec_lo, s0
	s_and_saveexec_b32 s0, s4
	s_cbranch_execz .LBB32_24
.LBB32_56:                              ;   in Loop: Header=BB32_25 Depth=1
	v_lshl_add_u64 v[2:3], v[52:53], 4, s[6:7]
	global_store_b128 v[2:3], v[14:17], off
	s_branch .LBB32_24
.LBB32_57:
	s_endpgm
	.section	.rodata,"a",@progbits
	.p2align	6, 0x0
	.amdhsa_kernel _ZN2at6native12_GLOBAL__N_125multi_tensor_apply_kernelINS1_28TensorListScalarListMetadataIN3c107complexIdEELi2EEENS1_26TernaryOpScalarListFunctorIS6_Li2ELi2ELi0EEEJNS0_11LerpFunctorIS6_EEEEEvT_T0_DpT1_
		.amdhsa_group_segment_fixed_size 0
		.amdhsa_private_segment_fixed_size 0
		.amdhsa_kernarg_size 4264
		.amdhsa_user_sgpr_count 2
		.amdhsa_user_sgpr_dispatch_ptr 0
		.amdhsa_user_sgpr_queue_ptr 0
		.amdhsa_user_sgpr_kernarg_segment_ptr 1
		.amdhsa_user_sgpr_dispatch_id 0
		.amdhsa_user_sgpr_kernarg_preload_length 0
		.amdhsa_user_sgpr_kernarg_preload_offset 0
		.amdhsa_user_sgpr_private_segment_size 0
		.amdhsa_wavefront_size32 1
		.amdhsa_uses_dynamic_stack 0
		.amdhsa_enable_private_segment 0
		.amdhsa_system_sgpr_workgroup_id_x 1
		.amdhsa_system_sgpr_workgroup_id_y 0
		.amdhsa_system_sgpr_workgroup_id_z 0
		.amdhsa_system_sgpr_workgroup_info 0
		.amdhsa_system_vgpr_workitem_id 0
		.amdhsa_next_free_vgpr 58
		.amdhsa_next_free_sgpr 24
		.amdhsa_named_barrier_count 0
		.amdhsa_reserve_vcc 1
		.amdhsa_float_round_mode_32 0
		.amdhsa_float_round_mode_16_64 0
		.amdhsa_float_denorm_mode_32 3
		.amdhsa_float_denorm_mode_16_64 3
		.amdhsa_fp16_overflow 0
		.amdhsa_memory_ordered 1
		.amdhsa_forward_progress 1
		.amdhsa_inst_pref_size 19
		.amdhsa_round_robin_scheduling 0
		.amdhsa_exception_fp_ieee_invalid_op 0
		.amdhsa_exception_fp_denorm_src 0
		.amdhsa_exception_fp_ieee_div_zero 0
		.amdhsa_exception_fp_ieee_overflow 0
		.amdhsa_exception_fp_ieee_underflow 0
		.amdhsa_exception_fp_ieee_inexact 0
		.amdhsa_exception_int_div_zero 0
	.end_amdhsa_kernel
	.section	.text._ZN2at6native12_GLOBAL__N_125multi_tensor_apply_kernelINS1_28TensorListScalarListMetadataIN3c107complexIdEELi2EEENS1_26TernaryOpScalarListFunctorIS6_Li2ELi2ELi0EEEJNS0_11LerpFunctorIS6_EEEEEvT_T0_DpT1_,"axG",@progbits,_ZN2at6native12_GLOBAL__N_125multi_tensor_apply_kernelINS1_28TensorListScalarListMetadataIN3c107complexIdEELi2EEENS1_26TernaryOpScalarListFunctorIS6_Li2ELi2ELi0EEEJNS0_11LerpFunctorIS6_EEEEEvT_T0_DpT1_,comdat
.Lfunc_end32:
	.size	_ZN2at6native12_GLOBAL__N_125multi_tensor_apply_kernelINS1_28TensorListScalarListMetadataIN3c107complexIdEELi2EEENS1_26TernaryOpScalarListFunctorIS6_Li2ELi2ELi0EEEJNS0_11LerpFunctorIS6_EEEEEvT_T0_DpT1_, .Lfunc_end32-_ZN2at6native12_GLOBAL__N_125multi_tensor_apply_kernelINS1_28TensorListScalarListMetadataIN3c107complexIdEELi2EEENS1_26TernaryOpScalarListFunctorIS6_Li2ELi2ELi0EEEJNS0_11LerpFunctorIS6_EEEEEvT_T0_DpT1_
                                        ; -- End function
	.set _ZN2at6native12_GLOBAL__N_125multi_tensor_apply_kernelINS1_28TensorListScalarListMetadataIN3c107complexIdEELi2EEENS1_26TernaryOpScalarListFunctorIS6_Li2ELi2ELi0EEEJNS0_11LerpFunctorIS6_EEEEEvT_T0_DpT1_.num_vgpr, 58
	.set _ZN2at6native12_GLOBAL__N_125multi_tensor_apply_kernelINS1_28TensorListScalarListMetadataIN3c107complexIdEELi2EEENS1_26TernaryOpScalarListFunctorIS6_Li2ELi2ELi0EEEJNS0_11LerpFunctorIS6_EEEEEvT_T0_DpT1_.num_agpr, 0
	.set _ZN2at6native12_GLOBAL__N_125multi_tensor_apply_kernelINS1_28TensorListScalarListMetadataIN3c107complexIdEELi2EEENS1_26TernaryOpScalarListFunctorIS6_Li2ELi2ELi0EEEJNS0_11LerpFunctorIS6_EEEEEvT_T0_DpT1_.numbered_sgpr, 24
	.set _ZN2at6native12_GLOBAL__N_125multi_tensor_apply_kernelINS1_28TensorListScalarListMetadataIN3c107complexIdEELi2EEENS1_26TernaryOpScalarListFunctorIS6_Li2ELi2ELi0EEEJNS0_11LerpFunctorIS6_EEEEEvT_T0_DpT1_.num_named_barrier, 0
	.set _ZN2at6native12_GLOBAL__N_125multi_tensor_apply_kernelINS1_28TensorListScalarListMetadataIN3c107complexIdEELi2EEENS1_26TernaryOpScalarListFunctorIS6_Li2ELi2ELi0EEEJNS0_11LerpFunctorIS6_EEEEEvT_T0_DpT1_.private_seg_size, 0
	.set _ZN2at6native12_GLOBAL__N_125multi_tensor_apply_kernelINS1_28TensorListScalarListMetadataIN3c107complexIdEELi2EEENS1_26TernaryOpScalarListFunctorIS6_Li2ELi2ELi0EEEJNS0_11LerpFunctorIS6_EEEEEvT_T0_DpT1_.uses_vcc, 1
	.set _ZN2at6native12_GLOBAL__N_125multi_tensor_apply_kernelINS1_28TensorListScalarListMetadataIN3c107complexIdEELi2EEENS1_26TernaryOpScalarListFunctorIS6_Li2ELi2ELi0EEEJNS0_11LerpFunctorIS6_EEEEEvT_T0_DpT1_.uses_flat_scratch, 0
	.set _ZN2at6native12_GLOBAL__N_125multi_tensor_apply_kernelINS1_28TensorListScalarListMetadataIN3c107complexIdEELi2EEENS1_26TernaryOpScalarListFunctorIS6_Li2ELi2ELi0EEEJNS0_11LerpFunctorIS6_EEEEEvT_T0_DpT1_.has_dyn_sized_stack, 0
	.set _ZN2at6native12_GLOBAL__N_125multi_tensor_apply_kernelINS1_28TensorListScalarListMetadataIN3c107complexIdEELi2EEENS1_26TernaryOpScalarListFunctorIS6_Li2ELi2ELi0EEEJNS0_11LerpFunctorIS6_EEEEEvT_T0_DpT1_.has_recursion, 0
	.set _ZN2at6native12_GLOBAL__N_125multi_tensor_apply_kernelINS1_28TensorListScalarListMetadataIN3c107complexIdEELi2EEENS1_26TernaryOpScalarListFunctorIS6_Li2ELi2ELi0EEEJNS0_11LerpFunctorIS6_EEEEEvT_T0_DpT1_.has_indirect_call, 0
	.section	.AMDGPU.csdata,"",@progbits
; Kernel info:
; codeLenInByte = 2360
; TotalNumSgprs: 26
; NumVgprs: 58
; ScratchSize: 0
; MemoryBound: 1
; FloatMode: 240
; IeeeMode: 1
; LDSByteSize: 0 bytes/workgroup (compile time only)
; SGPRBlocks: 0
; VGPRBlocks: 3
; NumSGPRsForWavesPerEU: 26
; NumVGPRsForWavesPerEU: 58
; NamedBarCnt: 0
; Occupancy: 16
; WaveLimiterHint : 0
; COMPUTE_PGM_RSRC2:SCRATCH_EN: 0
; COMPUTE_PGM_RSRC2:USER_SGPR: 2
; COMPUTE_PGM_RSRC2:TRAP_HANDLER: 0
; COMPUTE_PGM_RSRC2:TGID_X_EN: 1
; COMPUTE_PGM_RSRC2:TGID_Y_EN: 0
; COMPUTE_PGM_RSRC2:TGID_Z_EN: 0
; COMPUTE_PGM_RSRC2:TIDIG_COMP_CNT: 0
	.section	.text._ZN2at6native12_GLOBAL__N_125multi_tensor_apply_kernelINS1_28TensorListScalarListMetadataIN3c107complexIfEELi2EEENS1_26TernaryOpScalarListFunctorIS6_Li2ELi2ELi0EEEJNS0_11LerpFunctorIS6_EEEEEvT_T0_DpT1_,"axG",@progbits,_ZN2at6native12_GLOBAL__N_125multi_tensor_apply_kernelINS1_28TensorListScalarListMetadataIN3c107complexIfEELi2EEENS1_26TernaryOpScalarListFunctorIS6_Li2ELi2ELi0EEEJNS0_11LerpFunctorIS6_EEEEEvT_T0_DpT1_,comdat
	.globl	_ZN2at6native12_GLOBAL__N_125multi_tensor_apply_kernelINS1_28TensorListScalarListMetadataIN3c107complexIfEELi2EEENS1_26TernaryOpScalarListFunctorIS6_Li2ELi2ELi0EEEJNS0_11LerpFunctorIS6_EEEEEvT_T0_DpT1_ ; -- Begin function _ZN2at6native12_GLOBAL__N_125multi_tensor_apply_kernelINS1_28TensorListScalarListMetadataIN3c107complexIfEELi2EEENS1_26TernaryOpScalarListFunctorIS6_Li2ELi2ELi0EEEJNS0_11LerpFunctorIS6_EEEEEvT_T0_DpT1_
	.p2align	8
	.type	_ZN2at6native12_GLOBAL__N_125multi_tensor_apply_kernelINS1_28TensorListScalarListMetadataIN3c107complexIfEELi2EEENS1_26TernaryOpScalarListFunctorIS6_Li2ELi2ELi0EEEJNS0_11LerpFunctorIS6_EEEEEvT_T0_DpT1_,@function
_ZN2at6native12_GLOBAL__N_125multi_tensor_apply_kernelINS1_28TensorListScalarListMetadataIN3c107complexIfEELi2EEENS1_26TernaryOpScalarListFunctorIS6_Li2ELi2ELi0EEEJNS0_11LerpFunctorIS6_EEEEEvT_T0_DpT1_: ; @_ZN2at6native12_GLOBAL__N_125multi_tensor_apply_kernelINS1_28TensorListScalarListMetadataIN3c107complexIfEELi2EEENS1_26TernaryOpScalarListFunctorIS6_Li2ELi2ELi0EEEJNS0_11LerpFunctorIS6_EEEEEvT_T0_DpT1_
; %bb.0:
	s_bfe_u32 s2, ttmp6, 0x4000c
	s_and_b32 s3, ttmp6, 15
	s_add_co_i32 s2, s2, 1
	s_getreg_b32 s4, hwreg(HW_REG_IB_STS2, 6, 4)
	s_mul_i32 s2, ttmp9, s2
	s_delay_alu instid0(SALU_CYCLE_1)
	s_add_co_i32 s3, s3, s2
	s_cmp_eq_u32 s4, 0
	s_cselect_b32 s2, ttmp9, s3
	s_mov_b32 s3, 0
	s_load_u8 s11, s[0:1], s2 offset:0x800
	s_add_nc_u64 s[4:5], s[0:1], s[2:3]
	s_mul_u64 s[6:7], s[2:3], 3
	s_mov_b32 s15, s3
	s_add_nc_u64 s[8:9], s[4:5], s[6:7]
	s_load_b32 s10, s[8:9], 0x940
	s_wait_kmcnt 0x0
	s_clause 0x3
	s_load_b64 s[4:5], s[0:1], s11 offset:0x0 scale_offset
	s_load_b64 s[6:7], s[0:1], s11 offset:0x600 scale_offset
	;; [unrolled: 1-line block ×4, first 2 shown]
	s_wait_xcnt 0x0
	s_ashr_i32 s11, s10, 31
	s_delay_alu instid0(SALU_CYCLE_1)
	s_lshl_b64 s[8:9], s[10:11], 19
	s_wait_kmcnt 0x0
	s_and_b64 s[20:21], s[18:19], 31
	s_add_nc_u64 s[16:17], s[4:5], s[8:9]
	s_and_b32 s14, s12, 3
	s_and_b32 s2, s16, 31
	s_or_b64 s[14:15], s[20:21], s[14:15]
	s_lshl_b64 s[10:11], s[10:11], 16
	s_or_b64 s[2:3], s[14:15], s[2:3]
	s_sub_nc_u64 s[10:11], s[12:13], s[10:11]
	s_cmp_eq_u64 s[2:3], 0
	s_mov_b32 s2, -1
	s_cbranch_scc0 .LBB33_21
; %bb.1:
	v_min_i64 v[22:23], 0x10000, s[10:11]
	v_dual_mov_b32 v3, 0 :: v_dual_lshlrev_b32 v2, 2, v0
	s_mov_b32 s3, exec_lo
	s_delay_alu instid0(VALU_DEP_1)
	v_cmpx_lt_i64_e64 v[2:3], v[22:23]
	s_cbranch_execz .LBB33_20
; %bb.2:
	s_load_b32 s12, s[0:1], 0xe54
	v_mov_b64_e32 v[4:5], s[6:7]
	v_dual_mov_b32 v1, v3 :: v_dual_lshlrev_b32 v2, 5, v0
	s_mov_b32 s13, 0
	s_mov_b32 s14, s7
	;; [unrolled: 1-line block ×3, first 2 shown]
	s_delay_alu instid0(VALU_DEP_1) | instskip(NEXT) | instid1(VALU_DEP_3)
	v_mov_b64_e32 v[28:29], v[0:1]
	v_pk_mul_f32 v[6:7], v[4:5], v[4:5]
	v_pk_add_f32 v[24:25], v[4:5], 1.0 neg_lo:[1,0] neg_hi:[1,0]
	v_add_nc_u64_e32 v[26:27], s[8:9], v[2:3]
	s_mov_b32 s17, s13
	s_mov_b32 s20, s13
	s_delay_alu instid0(VALU_DEP_2) | instskip(SKIP_1) | instid1(VALU_DEP_2)
	v_dual_add_f32 v4, v6, v7 :: v_dual_mov_b32 v30, v25
	v_mov_b32_e32 v31, v24
	v_cmp_ngt_f32_e64 s2, 0x3e800000, v4
	s_wait_kmcnt 0x0
	s_and_b32 s12, s12, 0xffff
	s_delay_alu instid0(SALU_CYCLE_1)
	s_lshl_b32 s16, s12, 5
	s_branch .LBB33_4
.LBB33_3:                               ;   in Loop: Header=BB33_4 Depth=1
	v_add_nc_u64_e32 v[28:29], s[12:13], v[28:29]
	v_add_nc_u64_e32 v[26:27], s[16:17], v[26:27]
	s_clause 0x1
	global_store_b128 v[32:33], v[6:9], off
	global_store_b128 v[32:33], v[14:17], off offset:16
	v_lshlrev_b64_e32 v[2:3], 2, v[28:29]
	s_delay_alu instid0(VALU_DEP_1)
	v_cmp_ge_i64_e32 vcc_lo, v[2:3], v[22:23]
	s_or_b32 s20, vcc_lo, s20
	s_wait_xcnt 0x0
	s_and_not1_b32 exec_lo, exec_lo, s20
	s_cbranch_execz .LBB33_20
.LBB33_4:                               ; =>This Inner Loop Header: Depth=1
	v_add_nc_u64_e32 v[6:7], s[18:19], v[26:27]
	v_add_nc_u64_e32 v[32:33], s[4:5], v[26:27]
	s_and_b32 vcc_lo, exec_lo, s2
	s_mov_b32 s21, -1
	global_load_b128 v[18:21], v[6:7], off
	s_clause 0x1
	global_load_b128 v[14:17], v[32:33], off
	global_load_b128 v[2:5], v[32:33], off offset:16
	global_load_b128 v[10:13], v[6:7], off offset:16
                                        ; implicit-def: $vgpr6_vgpr7
	s_wait_loadcnt 0x2
	v_pk_add_f32 v[8:9], v[18:19], v[14:15] neg_lo:[0,1] neg_hi:[0,1]
	s_cbranch_vccz .LBB33_8
; %bb.5:                                ;   in Loop: Header=BB33_4 Depth=1
	s_wait_xcnt 0x0
	s_delay_alu instid0(VALU_DEP_1) | instskip(NEXT) | instid1(VALU_DEP_1)
	v_pk_mul_f32 v[6:7], v[30:31], v[8:9] op_sel:[0,1]
	v_pk_fma_f32 v[34:35], v[24:25], v[8:9], v[6:7] op_sel_hi:[1,0,1]
	v_pk_fma_f32 v[6:7], v[24:25], v[8:9], v[6:7] neg_lo:[0,0,1] neg_hi:[0,0,1]
	s_delay_alu instid0(VALU_DEP_2) | instskip(NEXT) | instid1(VALU_DEP_1)
	v_mov_b32_e32 v7, v35
	v_pk_add_f32 v[6:7], v[18:19], v[6:7] neg_lo:[0,1] neg_hi:[0,1]
	s_cbranch_execz .LBB33_9
.LBB33_6:                               ;   in Loop: Header=BB33_4 Depth=1
	v_pk_add_f32 v[14:15], v[20:21], v[16:17] neg_lo:[0,1] neg_hi:[0,1]
	s_and_not1_b32 vcc_lo, exec_lo, s2
	s_mov_b32 s21, -1
	s_cbranch_vccnz .LBB33_10
.LBB33_7:                               ;   in Loop: Header=BB33_4 Depth=1
	s_delay_alu instid0(VALU_DEP_1) | instskip(NEXT) | instid1(VALU_DEP_1)
	v_pk_mul_f32 v[8:9], v[30:31], v[14:15] op_sel:[0,1]
	v_pk_fma_f32 v[18:19], v[24:25], v[14:15], v[8:9] op_sel_hi:[1,0,1]
	v_pk_fma_f32 v[8:9], v[24:25], v[14:15], v[8:9] neg_lo:[0,0,1] neg_hi:[0,0,1]
	s_delay_alu instid0(VALU_DEP_2) | instskip(NEXT) | instid1(VALU_DEP_1)
	v_mov_b32_e32 v9, v19
	v_pk_add_f32 v[8:9], v[20:21], v[8:9] neg_lo:[0,1] neg_hi:[0,1]
	s_cbranch_execnz .LBB33_12
	s_branch .LBB33_11
.LBB33_8:                               ;   in Loop: Header=BB33_4 Depth=1
	s_and_not1_b32 vcc_lo, exec_lo, s21
	s_cbranch_vccnz .LBB33_6
.LBB33_9:                               ;   in Loop: Header=BB33_4 Depth=1
	s_wait_xcnt 0x0
	v_mov_b64_e32 v[6:7], s[14:15]
	v_mov_b64_e32 v[18:19], s[6:7]
	s_delay_alu instid0(VALU_DEP_2) | instskip(NEXT) | instid1(VALU_DEP_1)
	v_pk_mul_f32 v[6:7], v[8:9], v[6:7] op_sel:[1,0]
	v_pk_fma_f32 v[34:35], v[8:9], v[18:19], v[6:7] op_sel_hi:[0,1,1]
	v_pk_fma_f32 v[6:7], v[8:9], v[18:19], v[6:7] neg_lo:[0,0,1] neg_hi:[0,0,1]
	s_delay_alu instid0(VALU_DEP_2) | instskip(NEXT) | instid1(VALU_DEP_1)
	v_mov_b32_e32 v7, v35
	v_pk_add_f32 v[6:7], v[14:15], v[6:7]
	v_pk_add_f32 v[14:15], v[20:21], v[16:17] neg_lo:[0,1] neg_hi:[0,1]
	s_and_not1_b32 vcc_lo, exec_lo, s2
	s_mov_b32 s21, -1
	s_cbranch_vccz .LBB33_7
.LBB33_10:                              ;   in Loop: Header=BB33_4 Depth=1
	s_and_not1_b32 vcc_lo, exec_lo, s21
	s_cbranch_vccnz .LBB33_12
.LBB33_11:                              ;   in Loop: Header=BB33_4 Depth=1
	v_mov_b64_e32 v[8:9], s[14:15]
	v_mov_b64_e32 v[18:19], s[6:7]
	s_delay_alu instid0(VALU_DEP_2) | instskip(NEXT) | instid1(VALU_DEP_1)
	v_pk_mul_f32 v[8:9], v[14:15], v[8:9] op_sel:[1,0]
	v_pk_fma_f32 v[20:21], v[14:15], v[18:19], v[8:9] op_sel_hi:[0,1,1]
	v_pk_fma_f32 v[8:9], v[14:15], v[18:19], v[8:9] neg_lo:[0,0,1] neg_hi:[0,0,1]
	s_delay_alu instid0(VALU_DEP_2) | instskip(NEXT) | instid1(VALU_DEP_1)
	v_mov_b32_e32 v9, v21
	v_pk_add_f32 v[8:9], v[16:17], v[8:9]
.LBB33_12:                              ;   in Loop: Header=BB33_4 Depth=1
	s_wait_loadcnt 0x0
	v_pk_add_f32 v[16:17], v[10:11], v[2:3] neg_lo:[0,1] neg_hi:[0,1]
	s_and_not1_b32 vcc_lo, exec_lo, s2
	s_mov_b32 s21, -1
                                        ; implicit-def: $vgpr14_vgpr15
	s_cbranch_vccnz .LBB33_16
; %bb.13:                               ;   in Loop: Header=BB33_4 Depth=1
	s_delay_alu instid0(VALU_DEP_1) | instskip(NEXT) | instid1(VALU_DEP_1)
	v_pk_mul_f32 v[14:15], v[30:31], v[16:17] op_sel:[0,1]
	v_pk_fma_f32 v[18:19], v[24:25], v[16:17], v[14:15] op_sel_hi:[1,0,1]
	v_pk_fma_f32 v[14:15], v[24:25], v[16:17], v[14:15] neg_lo:[0,0,1] neg_hi:[0,0,1]
	s_delay_alu instid0(VALU_DEP_2) | instskip(NEXT) | instid1(VALU_DEP_1)
	v_mov_b32_e32 v15, v19
	v_pk_add_f32 v[14:15], v[10:11], v[14:15] neg_lo:[0,1] neg_hi:[0,1]
	s_cbranch_execz .LBB33_17
.LBB33_14:                              ;   in Loop: Header=BB33_4 Depth=1
	v_pk_add_f32 v[2:3], v[12:13], v[4:5] neg_lo:[0,1] neg_hi:[0,1]
	s_and_not1_b32 vcc_lo, exec_lo, s2
	s_mov_b32 s21, -1
	s_cbranch_vccnz .LBB33_18
.LBB33_15:                              ;   in Loop: Header=BB33_4 Depth=1
	s_delay_alu instid0(VALU_DEP_1) | instskip(NEXT) | instid1(VALU_DEP_1)
	v_pk_mul_f32 v[10:11], v[30:31], v[2:3] op_sel:[0,1]
	v_pk_fma_f32 v[16:17], v[24:25], v[2:3], v[10:11] op_sel_hi:[1,0,1]
	v_pk_fma_f32 v[10:11], v[24:25], v[2:3], v[10:11] neg_lo:[0,0,1] neg_hi:[0,0,1]
	s_delay_alu instid0(VALU_DEP_2) | instskip(NEXT) | instid1(VALU_DEP_1)
	v_mov_b32_e32 v11, v17
	v_pk_add_f32 v[16:17], v[12:13], v[10:11] neg_lo:[0,1] neg_hi:[0,1]
	s_cbranch_execnz .LBB33_3
	s_branch .LBB33_19
.LBB33_16:                              ;   in Loop: Header=BB33_4 Depth=1
	s_and_not1_b32 vcc_lo, exec_lo, s21
	s_cbranch_vccnz .LBB33_14
.LBB33_17:                              ;   in Loop: Header=BB33_4 Depth=1
	v_mov_b64_e32 v[10:11], s[14:15]
	v_mov_b64_e32 v[14:15], s[6:7]
	s_delay_alu instid0(VALU_DEP_2) | instskip(NEXT) | instid1(VALU_DEP_1)
	v_pk_mul_f32 v[10:11], v[16:17], v[10:11] op_sel:[1,0]
	v_pk_fma_f32 v[18:19], v[16:17], v[14:15], v[10:11] op_sel_hi:[0,1,1]
	v_pk_fma_f32 v[10:11], v[16:17], v[14:15], v[10:11] neg_lo:[0,0,1] neg_hi:[0,0,1]
	s_delay_alu instid0(VALU_DEP_2) | instskip(NEXT) | instid1(VALU_DEP_1)
	v_mov_b32_e32 v11, v19
	v_pk_add_f32 v[14:15], v[2:3], v[10:11]
	v_pk_add_f32 v[2:3], v[12:13], v[4:5] neg_lo:[0,1] neg_hi:[0,1]
	s_and_not1_b32 vcc_lo, exec_lo, s2
	s_mov_b32 s21, -1
	s_cbranch_vccz .LBB33_15
.LBB33_18:                              ;   in Loop: Header=BB33_4 Depth=1
	s_and_not1_b32 vcc_lo, exec_lo, s21
	s_cbranch_vccnz .LBB33_3
.LBB33_19:                              ;   in Loop: Header=BB33_4 Depth=1
	v_mov_b64_e32 v[10:11], s[14:15]
	v_mov_b64_e32 v[12:13], s[6:7]
	s_delay_alu instid0(VALU_DEP_2) | instskip(NEXT) | instid1(VALU_DEP_1)
	v_pk_mul_f32 v[10:11], v[2:3], v[10:11] op_sel:[1,0]
	v_pk_fma_f32 v[16:17], v[2:3], v[12:13], v[10:11] op_sel_hi:[0,1,1]
	v_pk_fma_f32 v[2:3], v[2:3], v[12:13], v[10:11] neg_lo:[0,0,1] neg_hi:[0,0,1]
	s_delay_alu instid0(VALU_DEP_2) | instskip(NEXT) | instid1(VALU_DEP_1)
	v_mov_b32_e32 v3, v17
	v_pk_add_f32 v[16:17], v[4:5], v[2:3]
	s_branch .LBB33_3
.LBB33_20:
	s_or_b32 exec_lo, exec_lo, s3
	s_mov_b32 s2, 0
.LBB33_21:
	s_delay_alu instid0(SALU_CYCLE_1)
	s_and_not1_b32 vcc_lo, exec_lo, s2
	s_cbranch_vccnz .LBB33_57
; %bb.22:
	v_cmp_lt_i64_e64 s2, s[10:11], 1
	s_and_b32 vcc_lo, exec_lo, s2
	s_cbranch_vccnz .LBB33_57
; %bb.23:
	s_load_b32 s0, s[0:1], 0xe54
	v_min_i64 v[2:3], 0x10000, s[10:11]
	v_min_u64 v[4:5], 0x10000, s[10:11]
	v_dual_mov_b32 v1, 0 :: v_dual_lshlrev_b32 v12, 3, v0
	v_mov_b64_e32 v[6:7], s[6:7]
	s_mov_b32 s3, 0
	s_sub_f32 s10, 1.0, s6
	s_delay_alu instid0(VALU_DEP_2) | instskip(SKIP_2) | instid1(VALU_DEP_2)
	v_dual_mov_b32 v13, v1 :: v_dual_mov_b32 v27, v1
	s_mov_b32 s25, s3
	s_mov_b32 s21, s3
	v_pk_mul_f32 v[6:7], v[6:7], v[6:7]
	s_mov_b32 s23, s3
	v_add_nc_u64_e32 v[8:9], s[4:5], v[12:13]
	s_sub_f32 s12, 0, s7
	s_mov_b32 s14, s6
	s_mov_b32 s15, s6
	;; [unrolled: 1-line block ×4, first 2 shown]
	s_wait_kmcnt 0x0
	s_and_b32 s2, s0, 0xffff
	s_mov_b32 s11, s10
	v_add_nc_u64_e32 v[10:11], s[2:3], v[0:1]
	v_mad_nc_u64_u32 v[14:15], s2, 24, v[12:13]
	s_lshl_b32 s24, s2, 4
	v_add_f32_e32 v16, v6, v7
	v_add_nc_u64_e32 v[20:21], s[24:25], v[12:13]
	s_lshl_b32 s20, s2, 1
	s_mul_i32 s22, s2, 3
	v_lshlrev_b32_e32 v26, 3, v10
	v_add_nc_u64_e32 v[6:7], s[18:19], v[12:13]
	v_cmp_ngt_f32_e64 s0, 0x3e800000, v16
	v_add_nc_u64_e32 v[16:17], s[22:23], v[0:1]
	v_add_nc_u64_e32 v[18:19], s[18:19], v[20:21]
	;; [unrolled: 1-line block ×8, first 2 shown]
	s_lshl_b32 s16, s2, 2
	s_mov_b32 s13, s12
	s_lshl_b32 s18, s2, 5
	s_mov_b32 s19, s3
	s_mov_b64 s[20:21], 0
	s_branch .LBB33_25
.LBB33_24:                              ;   in Loop: Header=BB33_25 Depth=1
	s_wait_xcnt 0x0
	s_or_b32 exec_lo, exec_lo, s1
	s_add_nc_u64 s[20:21], s[20:21], s[16:17]
	v_add_nc_u64_e32 v[6:7], s[18:19], v[6:7]
	v_cmp_ge_i64_e32 vcc_lo, s[20:21], v[2:3]
	v_add_nc_u64_e32 v[8:9], s[18:19], v[8:9]
	v_add_nc_u64_e32 v[12:13], s[18:19], v[12:13]
	;; [unrolled: 1-line block ×7, first 2 shown]
	s_cbranch_vccnz .LBB33_57
.LBB33_25:                              ; =>This Inner Loop Header: Depth=1
	v_add_nc_u64_e32 v[28:29], s[20:21], v[0:1]
	v_dual_mov_b32 v40, 0 :: v_dual_mov_b32 v41, 0
	v_dual_mov_b32 v44, 0 :: v_dual_mov_b32 v45, 0
	s_delay_alu instid0(VALU_DEP_3)
	v_cmp_lt_u64_e64 s1, v[28:29], v[4:5]
	s_and_saveexec_b32 s2, s1
	s_cbranch_execz .LBB33_27
; %bb.26:                               ;   in Loop: Header=BB33_25 Depth=1
	v_add_nc_u64_e32 v[28:29], s[8:9], v[8:9]
	v_add_nc_u64_e32 v[30:31], s[8:9], v[6:7]
	global_load_b64 v[40:41], v[28:29], off
	global_load_b64 v[44:45], v[30:31], off
.LBB33_27:                              ;   in Loop: Header=BB33_25 Depth=1
	s_wait_xcnt 0x0
	s_or_b32 exec_lo, exec_lo, s2
	v_add_nc_u64_e32 v[30:31], s[20:21], v[10:11]
	v_dual_mov_b32 v28, 0 :: v_dual_mov_b32 v34, 0
	v_dual_mov_b32 v35, 0 :: v_dual_mov_b32 v42, 0
	v_mov_b32_e32 v43, 0
	s_delay_alu instid0(VALU_DEP_4)
	v_cmp_lt_u64_e64 s2, v[30:31], v[4:5]
	s_and_saveexec_b32 s3, s2
	s_cbranch_execz .LBB33_29
; %bb.28:                               ;   in Loop: Header=BB33_25 Depth=1
	v_add_nc_u64_e32 v[30:31], s[8:9], v[26:27]
	v_add_nc_u64_e32 v[32:33], s[8:9], v[24:25]
	global_load_b64 v[34:35], v[30:31], off
	global_load_b64 v[42:43], v[32:33], off
.LBB33_29:                              ;   in Loop: Header=BB33_25 Depth=1
	s_wait_xcnt 0x0
	s_or_b32 exec_lo, exec_lo, s3
	v_add_nc_u64_e32 v[30:31], s[20:21], v[22:23]
	v_dual_mov_b32 v29, 0 :: v_dual_mov_b32 v36, 0
	v_mov_b32_e32 v37, 0
	s_delay_alu instid0(VALU_DEP_3)
	v_cmp_lt_u64_e64 s3, v[30:31], v[4:5]
	s_and_saveexec_b32 s4, s3
	s_cbranch_execz .LBB33_31
; %bb.30:                               ;   in Loop: Header=BB33_25 Depth=1
	v_add_nc_u64_e32 v[30:31], s[8:9], v[20:21]
	v_add_nc_u64_e32 v[32:33], s[8:9], v[18:19]
	global_load_b64 v[28:29], v[30:31], off
	global_load_b64 v[36:37], v[32:33], off
.LBB33_31:                              ;   in Loop: Header=BB33_25 Depth=1
	s_wait_xcnt 0x0
	s_or_b32 exec_lo, exec_lo, s4
	v_add_nc_u64_e32 v[32:33], s[20:21], v[16:17]
	v_mov_b32_e32 v30, 0
	s_delay_alu instid0(VALU_DEP_1) | instskip(NEXT) | instid1(VALU_DEP_3)
	v_mov_b32_e32 v31, v30
	v_cmp_lt_u64_e64 s4, v[32:33], v[4:5]
	v_dual_mov_b32 v32, v30 :: v_dual_mov_b32 v33, v30
	s_and_saveexec_b32 s5, s4
	s_cbranch_execz .LBB33_33
; %bb.32:                               ;   in Loop: Header=BB33_25 Depth=1
	v_add_nc_u64_e32 v[38:39], s[8:9], v[14:15]
	v_add_nc_u64_e32 v[46:47], s[8:9], v[12:13]
	global_load_b64 v[30:31], v[38:39], off
	global_load_b64 v[32:33], v[46:47], off
.LBB33_33:                              ;   in Loop: Header=BB33_25 Depth=1
	s_wait_xcnt 0x0
	s_or_b32 exec_lo, exec_lo, s5
	s_wait_loadcnt 0x0
	v_pk_add_f32 v[46:47], v[44:45], v[40:41] neg_lo:[0,1] neg_hi:[0,1]
	s_and_b32 vcc_lo, exec_lo, s0
	s_mov_b32 s5, -1
                                        ; implicit-def: $vgpr38_vgpr39
	s_cbranch_vccz .LBB33_35
; %bb.34:                               ;   in Loop: Header=BB33_25 Depth=1
	v_mov_b64_e32 v[38:39], s[12:13]
	v_mov_b64_e32 v[48:49], s[10:11]
	s_delay_alu instid0(VALU_DEP_2) | instskip(NEXT) | instid1(VALU_DEP_1)
	v_pk_mul_f32 v[38:39], v[38:39], v[46:47] op_sel:[0,1] op_sel_hi:[1,0]
	v_pk_fma_f32 v[50:51], v[48:49], v[46:47], v[38:39]
	v_pk_fma_f32 v[38:39], v[48:49], v[46:47], v[38:39] neg_lo:[0,0,1] neg_hi:[0,0,1]
	s_delay_alu instid0(VALU_DEP_2) | instskip(NEXT) | instid1(VALU_DEP_1)
	v_mov_b32_e32 v39, v51
	v_pk_add_f32 v[38:39], v[44:45], v[38:39] neg_lo:[0,1] neg_hi:[0,1]
	s_cbranch_execnz .LBB33_37
	s_branch .LBB33_36
.LBB33_35:                              ;   in Loop: Header=BB33_25 Depth=1
	s_and_not1_b32 vcc_lo, exec_lo, s5
	s_cbranch_vccnz .LBB33_37
.LBB33_36:                              ;   in Loop: Header=BB33_25 Depth=1
	v_mov_b64_e32 v[38:39], s[6:7]
	v_mov_b64_e32 v[44:45], s[14:15]
	s_delay_alu instid0(VALU_DEP_2) | instskip(NEXT) | instid1(VALU_DEP_1)
	v_pk_mul_f32 v[38:39], v[46:47], v[38:39] op_sel:[1,0] op_sel_hi:[0,1]
	v_pk_fma_f32 v[48:49], v[46:47], v[44:45], v[38:39]
	v_pk_fma_f32 v[38:39], v[46:47], v[44:45], v[38:39] neg_lo:[0,0,1] neg_hi:[0,0,1]
	s_delay_alu instid0(VALU_DEP_2) | instskip(NEXT) | instid1(VALU_DEP_1)
	v_mov_b32_e32 v39, v49
	v_pk_add_f32 v[38:39], v[40:41], v[38:39]
.LBB33_37:                              ;   in Loop: Header=BB33_25 Depth=1
	v_pk_add_f32 v[44:45], v[42:43], v[34:35] neg_lo:[0,1] neg_hi:[0,1]
	s_and_not1_b32 vcc_lo, exec_lo, s0
	s_mov_b32 s5, -1
                                        ; implicit-def: $vgpr40_vgpr41
	s_cbranch_vccnz .LBB33_39
; %bb.38:                               ;   in Loop: Header=BB33_25 Depth=1
	v_mov_b64_e32 v[40:41], s[12:13]
	v_mov_b64_e32 v[46:47], s[10:11]
	s_delay_alu instid0(VALU_DEP_2) | instskip(NEXT) | instid1(VALU_DEP_1)
	v_pk_mul_f32 v[40:41], v[40:41], v[44:45] op_sel:[0,1] op_sel_hi:[1,0]
	v_pk_fma_f32 v[48:49], v[46:47], v[44:45], v[40:41]
	v_pk_fma_f32 v[40:41], v[46:47], v[44:45], v[40:41] neg_lo:[0,0,1] neg_hi:[0,0,1]
	s_delay_alu instid0(VALU_DEP_2) | instskip(NEXT) | instid1(VALU_DEP_1)
	v_mov_b32_e32 v41, v49
	v_pk_add_f32 v[40:41], v[42:43], v[40:41] neg_lo:[0,1] neg_hi:[0,1]
	s_cbranch_execnz .LBB33_41
	s_branch .LBB33_40
.LBB33_39:                              ;   in Loop: Header=BB33_25 Depth=1
	s_and_not1_b32 vcc_lo, exec_lo, s5
	s_cbranch_vccnz .LBB33_41
.LBB33_40:                              ;   in Loop: Header=BB33_25 Depth=1
	v_mov_b64_e32 v[40:41], s[6:7]
	v_mov_b64_e32 v[42:43], s[14:15]
	s_delay_alu instid0(VALU_DEP_2) | instskip(NEXT) | instid1(VALU_DEP_1)
	v_pk_mul_f32 v[40:41], v[44:45], v[40:41] op_sel:[1,0] op_sel_hi:[0,1]
	v_pk_fma_f32 v[46:47], v[44:45], v[42:43], v[40:41]
	v_pk_fma_f32 v[40:41], v[44:45], v[42:43], v[40:41] neg_lo:[0,0,1] neg_hi:[0,0,1]
	s_delay_alu instid0(VALU_DEP_2) | instskip(NEXT) | instid1(VALU_DEP_1)
	v_mov_b32_e32 v41, v47
	v_pk_add_f32 v[40:41], v[34:35], v[40:41]
.LBB33_41:                              ;   in Loop: Header=BB33_25 Depth=1
	v_pk_add_f32 v[42:43], v[36:37], v[28:29] neg_lo:[0,1] neg_hi:[0,1]
	s_and_not1_b32 vcc_lo, exec_lo, s0
	s_mov_b32 s5, -1
                                        ; implicit-def: $vgpr34_vgpr35
	s_cbranch_vccnz .LBB33_43
; %bb.42:                               ;   in Loop: Header=BB33_25 Depth=1
	v_mov_b64_e32 v[34:35], s[12:13]
	v_mov_b64_e32 v[44:45], s[10:11]
	s_delay_alu instid0(VALU_DEP_2) | instskip(NEXT) | instid1(VALU_DEP_1)
	v_pk_mul_f32 v[34:35], v[34:35], v[42:43] op_sel:[0,1] op_sel_hi:[1,0]
	v_pk_fma_f32 v[46:47], v[44:45], v[42:43], v[34:35]
	v_pk_fma_f32 v[34:35], v[44:45], v[42:43], v[34:35] neg_lo:[0,0,1] neg_hi:[0,0,1]
	s_delay_alu instid0(VALU_DEP_2) | instskip(NEXT) | instid1(VALU_DEP_1)
	v_mov_b32_e32 v35, v47
	v_pk_add_f32 v[34:35], v[36:37], v[34:35] neg_lo:[0,1] neg_hi:[0,1]
	s_cbranch_execnz .LBB33_45
	s_branch .LBB33_44
.LBB33_43:                              ;   in Loop: Header=BB33_25 Depth=1
	s_and_not1_b32 vcc_lo, exec_lo, s5
	s_cbranch_vccnz .LBB33_45
.LBB33_44:                              ;   in Loop: Header=BB33_25 Depth=1
	v_mov_b64_e32 v[34:35], s[6:7]
	v_mov_b64_e32 v[36:37], s[14:15]
	s_delay_alu instid0(VALU_DEP_2) | instskip(NEXT) | instid1(VALU_DEP_1)
	v_pk_mul_f32 v[34:35], v[42:43], v[34:35] op_sel:[1,0] op_sel_hi:[0,1]
	v_pk_fma_f32 v[44:45], v[42:43], v[36:37], v[34:35]
	v_pk_fma_f32 v[34:35], v[42:43], v[36:37], v[34:35] neg_lo:[0,0,1] neg_hi:[0,0,1]
	s_delay_alu instid0(VALU_DEP_2) | instskip(NEXT) | instid1(VALU_DEP_1)
	v_mov_b32_e32 v35, v45
	v_pk_add_f32 v[34:35], v[28:29], v[34:35]
.LBB33_45:                              ;   in Loop: Header=BB33_25 Depth=1
	v_pk_add_f32 v[36:37], v[32:33], v[30:31] neg_lo:[0,1] neg_hi:[0,1]
	s_and_not1_b32 vcc_lo, exec_lo, s0
	s_mov_b32 s5, -1
                                        ; implicit-def: $vgpr28_vgpr29
	s_cbranch_vccnz .LBB33_51
; %bb.46:                               ;   in Loop: Header=BB33_25 Depth=1
	v_mov_b64_e32 v[28:29], s[12:13]
	v_mov_b64_e32 v[42:43], s[10:11]
	s_delay_alu instid0(VALU_DEP_2) | instskip(NEXT) | instid1(VALU_DEP_1)
	v_pk_mul_f32 v[28:29], v[28:29], v[36:37] op_sel:[0,1] op_sel_hi:[1,0]
	v_pk_fma_f32 v[44:45], v[42:43], v[36:37], v[28:29]
	v_pk_fma_f32 v[28:29], v[42:43], v[36:37], v[28:29] neg_lo:[0,0,1] neg_hi:[0,0,1]
	s_delay_alu instid0(VALU_DEP_2) | instskip(NEXT) | instid1(VALU_DEP_1)
	v_mov_b32_e32 v29, v45
	v_pk_add_f32 v[28:29], v[32:33], v[28:29] neg_lo:[0,1] neg_hi:[0,1]
	s_cbranch_execz .LBB33_52
.LBB33_47:                              ;   in Loop: Header=BB33_25 Depth=1
	s_and_saveexec_b32 s5, s1
	s_delay_alu instid0(SALU_CYCLE_1)
	s_xor_b32 s1, exec_lo, s5
	s_cbranch_execz .LBB33_53
.LBB33_48:                              ;   in Loop: Header=BB33_25 Depth=1
	v_add_nc_u64_e32 v[30:31], s[8:9], v[8:9]
	global_store_b64 v[30:31], v[38:39], off
	s_wait_xcnt 0x0
	s_or_b32 exec_lo, exec_lo, s1
	s_and_saveexec_b32 s1, s2
	s_cbranch_execnz .LBB33_54
.LBB33_49:                              ;   in Loop: Header=BB33_25 Depth=1
	s_or_b32 exec_lo, exec_lo, s1
	s_and_saveexec_b32 s1, s3
	s_cbranch_execz .LBB33_55
.LBB33_50:                              ;   in Loop: Header=BB33_25 Depth=1
	v_add_nc_u64_e32 v[30:31], s[8:9], v[20:21]
	global_store_b64 v[30:31], v[34:35], off
	s_wait_xcnt 0x0
	s_or_b32 exec_lo, exec_lo, s1
	s_and_saveexec_b32 s1, s4
	s_cbranch_execz .LBB33_24
	s_branch .LBB33_56
.LBB33_51:                              ;   in Loop: Header=BB33_25 Depth=1
	s_and_not1_b32 vcc_lo, exec_lo, s5
	s_cbranch_vccnz .LBB33_47
.LBB33_52:                              ;   in Loop: Header=BB33_25 Depth=1
	v_mov_b64_e32 v[28:29], s[6:7]
	v_mov_b64_e32 v[32:33], s[14:15]
	s_delay_alu instid0(VALU_DEP_2) | instskip(NEXT) | instid1(VALU_DEP_1)
	v_pk_mul_f32 v[28:29], v[36:37], v[28:29] op_sel:[1,0] op_sel_hi:[0,1]
	v_pk_fma_f32 v[42:43], v[36:37], v[32:33], v[28:29]
	v_pk_fma_f32 v[28:29], v[36:37], v[32:33], v[28:29] neg_lo:[0,0,1] neg_hi:[0,0,1]
	s_delay_alu instid0(VALU_DEP_2) | instskip(NEXT) | instid1(VALU_DEP_1)
	v_mov_b32_e32 v29, v43
	v_pk_add_f32 v[28:29], v[30:31], v[28:29]
	s_and_saveexec_b32 s5, s1
	s_delay_alu instid0(SALU_CYCLE_1)
	s_xor_b32 s1, exec_lo, s5
	s_cbranch_execnz .LBB33_48
.LBB33_53:                              ;   in Loop: Header=BB33_25 Depth=1
	s_or_b32 exec_lo, exec_lo, s1
	s_and_saveexec_b32 s1, s2
	s_cbranch_execz .LBB33_49
.LBB33_54:                              ;   in Loop: Header=BB33_25 Depth=1
	v_add_nc_u64_e32 v[30:31], s[8:9], v[26:27]
	global_store_b64 v[30:31], v[40:41], off
	s_wait_xcnt 0x0
	s_or_b32 exec_lo, exec_lo, s1
	s_and_saveexec_b32 s1, s3
	s_cbranch_execnz .LBB33_50
.LBB33_55:                              ;   in Loop: Header=BB33_25 Depth=1
	s_or_b32 exec_lo, exec_lo, s1
	s_and_saveexec_b32 s1, s4
	s_cbranch_execz .LBB33_24
.LBB33_56:                              ;   in Loop: Header=BB33_25 Depth=1
	v_add_nc_u64_e32 v[30:31], s[8:9], v[14:15]
	global_store_b64 v[30:31], v[28:29], off
	s_branch .LBB33_24
.LBB33_57:
	s_endpgm
	.section	.rodata,"a",@progbits
	.p2align	6, 0x0
	.amdhsa_kernel _ZN2at6native12_GLOBAL__N_125multi_tensor_apply_kernelINS1_28TensorListScalarListMetadataIN3c107complexIfEELi2EEENS1_26TernaryOpScalarListFunctorIS6_Li2ELi2ELi0EEEJNS0_11LerpFunctorIS6_EEEEEvT_T0_DpT1_
		.amdhsa_group_segment_fixed_size 0
		.amdhsa_private_segment_fixed_size 0
		.amdhsa_kernarg_size 3912
		.amdhsa_user_sgpr_count 2
		.amdhsa_user_sgpr_dispatch_ptr 0
		.amdhsa_user_sgpr_queue_ptr 0
		.amdhsa_user_sgpr_kernarg_segment_ptr 1
		.amdhsa_user_sgpr_dispatch_id 0
		.amdhsa_user_sgpr_kernarg_preload_length 0
		.amdhsa_user_sgpr_kernarg_preload_offset 0
		.amdhsa_user_sgpr_private_segment_size 0
		.amdhsa_wavefront_size32 1
		.amdhsa_uses_dynamic_stack 0
		.amdhsa_enable_private_segment 0
		.amdhsa_system_sgpr_workgroup_id_x 1
		.amdhsa_system_sgpr_workgroup_id_y 0
		.amdhsa_system_sgpr_workgroup_id_z 0
		.amdhsa_system_sgpr_workgroup_info 0
		.amdhsa_system_vgpr_workitem_id 0
		.amdhsa_next_free_vgpr 52
		.amdhsa_next_free_sgpr 26
		.amdhsa_named_barrier_count 0
		.amdhsa_reserve_vcc 1
		.amdhsa_float_round_mode_32 0
		.amdhsa_float_round_mode_16_64 0
		.amdhsa_float_denorm_mode_32 3
		.amdhsa_float_denorm_mode_16_64 3
		.amdhsa_fp16_overflow 0
		.amdhsa_memory_ordered 1
		.amdhsa_forward_progress 1
		.amdhsa_inst_pref_size 20
		.amdhsa_round_robin_scheduling 0
		.amdhsa_exception_fp_ieee_invalid_op 0
		.amdhsa_exception_fp_denorm_src 0
		.amdhsa_exception_fp_ieee_div_zero 0
		.amdhsa_exception_fp_ieee_overflow 0
		.amdhsa_exception_fp_ieee_underflow 0
		.amdhsa_exception_fp_ieee_inexact 0
		.amdhsa_exception_int_div_zero 0
	.end_amdhsa_kernel
	.section	.text._ZN2at6native12_GLOBAL__N_125multi_tensor_apply_kernelINS1_28TensorListScalarListMetadataIN3c107complexIfEELi2EEENS1_26TernaryOpScalarListFunctorIS6_Li2ELi2ELi0EEEJNS0_11LerpFunctorIS6_EEEEEvT_T0_DpT1_,"axG",@progbits,_ZN2at6native12_GLOBAL__N_125multi_tensor_apply_kernelINS1_28TensorListScalarListMetadataIN3c107complexIfEELi2EEENS1_26TernaryOpScalarListFunctorIS6_Li2ELi2ELi0EEEJNS0_11LerpFunctorIS6_EEEEEvT_T0_DpT1_,comdat
.Lfunc_end33:
	.size	_ZN2at6native12_GLOBAL__N_125multi_tensor_apply_kernelINS1_28TensorListScalarListMetadataIN3c107complexIfEELi2EEENS1_26TernaryOpScalarListFunctorIS6_Li2ELi2ELi0EEEJNS0_11LerpFunctorIS6_EEEEEvT_T0_DpT1_, .Lfunc_end33-_ZN2at6native12_GLOBAL__N_125multi_tensor_apply_kernelINS1_28TensorListScalarListMetadataIN3c107complexIfEELi2EEENS1_26TernaryOpScalarListFunctorIS6_Li2ELi2ELi0EEEJNS0_11LerpFunctorIS6_EEEEEvT_T0_DpT1_
                                        ; -- End function
	.set _ZN2at6native12_GLOBAL__N_125multi_tensor_apply_kernelINS1_28TensorListScalarListMetadataIN3c107complexIfEELi2EEENS1_26TernaryOpScalarListFunctorIS6_Li2ELi2ELi0EEEJNS0_11LerpFunctorIS6_EEEEEvT_T0_DpT1_.num_vgpr, 52
	.set _ZN2at6native12_GLOBAL__N_125multi_tensor_apply_kernelINS1_28TensorListScalarListMetadataIN3c107complexIfEELi2EEENS1_26TernaryOpScalarListFunctorIS6_Li2ELi2ELi0EEEJNS0_11LerpFunctorIS6_EEEEEvT_T0_DpT1_.num_agpr, 0
	.set _ZN2at6native12_GLOBAL__N_125multi_tensor_apply_kernelINS1_28TensorListScalarListMetadataIN3c107complexIfEELi2EEENS1_26TernaryOpScalarListFunctorIS6_Li2ELi2ELi0EEEJNS0_11LerpFunctorIS6_EEEEEvT_T0_DpT1_.numbered_sgpr, 26
	.set _ZN2at6native12_GLOBAL__N_125multi_tensor_apply_kernelINS1_28TensorListScalarListMetadataIN3c107complexIfEELi2EEENS1_26TernaryOpScalarListFunctorIS6_Li2ELi2ELi0EEEJNS0_11LerpFunctorIS6_EEEEEvT_T0_DpT1_.num_named_barrier, 0
	.set _ZN2at6native12_GLOBAL__N_125multi_tensor_apply_kernelINS1_28TensorListScalarListMetadataIN3c107complexIfEELi2EEENS1_26TernaryOpScalarListFunctorIS6_Li2ELi2ELi0EEEJNS0_11LerpFunctorIS6_EEEEEvT_T0_DpT1_.private_seg_size, 0
	.set _ZN2at6native12_GLOBAL__N_125multi_tensor_apply_kernelINS1_28TensorListScalarListMetadataIN3c107complexIfEELi2EEENS1_26TernaryOpScalarListFunctorIS6_Li2ELi2ELi0EEEJNS0_11LerpFunctorIS6_EEEEEvT_T0_DpT1_.uses_vcc, 1
	.set _ZN2at6native12_GLOBAL__N_125multi_tensor_apply_kernelINS1_28TensorListScalarListMetadataIN3c107complexIfEELi2EEENS1_26TernaryOpScalarListFunctorIS6_Li2ELi2ELi0EEEJNS0_11LerpFunctorIS6_EEEEEvT_T0_DpT1_.uses_flat_scratch, 0
	.set _ZN2at6native12_GLOBAL__N_125multi_tensor_apply_kernelINS1_28TensorListScalarListMetadataIN3c107complexIfEELi2EEENS1_26TernaryOpScalarListFunctorIS6_Li2ELi2ELi0EEEJNS0_11LerpFunctorIS6_EEEEEvT_T0_DpT1_.has_dyn_sized_stack, 0
	.set _ZN2at6native12_GLOBAL__N_125multi_tensor_apply_kernelINS1_28TensorListScalarListMetadataIN3c107complexIfEELi2EEENS1_26TernaryOpScalarListFunctorIS6_Li2ELi2ELi0EEEJNS0_11LerpFunctorIS6_EEEEEvT_T0_DpT1_.has_recursion, 0
	.set _ZN2at6native12_GLOBAL__N_125multi_tensor_apply_kernelINS1_28TensorListScalarListMetadataIN3c107complexIfEELi2EEENS1_26TernaryOpScalarListFunctorIS6_Li2ELi2ELi0EEEJNS0_11LerpFunctorIS6_EEEEEvT_T0_DpT1_.has_indirect_call, 0
	.section	.AMDGPU.csdata,"",@progbits
; Kernel info:
; codeLenInByte = 2448
; TotalNumSgprs: 28
; NumVgprs: 52
; ScratchSize: 0
; MemoryBound: 1
; FloatMode: 240
; IeeeMode: 1
; LDSByteSize: 0 bytes/workgroup (compile time only)
; SGPRBlocks: 0
; VGPRBlocks: 3
; NumSGPRsForWavesPerEU: 28
; NumVGPRsForWavesPerEU: 52
; NamedBarCnt: 0
; Occupancy: 16
; WaveLimiterHint : 1
; COMPUTE_PGM_RSRC2:SCRATCH_EN: 0
; COMPUTE_PGM_RSRC2:USER_SGPR: 2
; COMPUTE_PGM_RSRC2:TRAP_HANDLER: 0
; COMPUTE_PGM_RSRC2:TGID_X_EN: 1
; COMPUTE_PGM_RSRC2:TGID_Y_EN: 0
; COMPUTE_PGM_RSRC2:TGID_Z_EN: 0
; COMPUTE_PGM_RSRC2:TIDIG_COMP_CNT: 0
	.section	.text._ZN2at6native12_GLOBAL__N_125multi_tensor_apply_kernelINS1_28TensorListScalarListMetadataIfLi2EEENS1_26TernaryOpScalarListFunctorIN3c104HalfELi2ELi2ELi0EEEJNS0_11LerpFunctorIfEEEEEvT_T0_DpT1_,"axG",@progbits,_ZN2at6native12_GLOBAL__N_125multi_tensor_apply_kernelINS1_28TensorListScalarListMetadataIfLi2EEENS1_26TernaryOpScalarListFunctorIN3c104HalfELi2ELi2ELi0EEEJNS0_11LerpFunctorIfEEEEEvT_T0_DpT1_,comdat
	.globl	_ZN2at6native12_GLOBAL__N_125multi_tensor_apply_kernelINS1_28TensorListScalarListMetadataIfLi2EEENS1_26TernaryOpScalarListFunctorIN3c104HalfELi2ELi2ELi0EEEJNS0_11LerpFunctorIfEEEEEvT_T0_DpT1_ ; -- Begin function _ZN2at6native12_GLOBAL__N_125multi_tensor_apply_kernelINS1_28TensorListScalarListMetadataIfLi2EEENS1_26TernaryOpScalarListFunctorIN3c104HalfELi2ELi2ELi0EEEJNS0_11LerpFunctorIfEEEEEvT_T0_DpT1_
	.p2align	8
	.type	_ZN2at6native12_GLOBAL__N_125multi_tensor_apply_kernelINS1_28TensorListScalarListMetadataIfLi2EEENS1_26TernaryOpScalarListFunctorIN3c104HalfELi2ELi2ELi0EEEJNS0_11LerpFunctorIfEEEEEvT_T0_DpT1_,@function
_ZN2at6native12_GLOBAL__N_125multi_tensor_apply_kernelINS1_28TensorListScalarListMetadataIfLi2EEENS1_26TernaryOpScalarListFunctorIN3c104HalfELi2ELi2ELi0EEEJNS0_11LerpFunctorIfEEEEEvT_T0_DpT1_: ; @_ZN2at6native12_GLOBAL__N_125multi_tensor_apply_kernelINS1_28TensorListScalarListMetadataIfLi2EEENS1_26TernaryOpScalarListFunctorIN3c104HalfELi2ELi2ELi0EEEJNS0_11LerpFunctorIfEEEEEvT_T0_DpT1_
; %bb.0:
	s_bfe_u32 s2, ttmp6, 0x4000c
	s_and_b32 s3, ttmp6, 15
	s_add_co_i32 s2, s2, 1
	s_getreg_b32 s4, hwreg(HW_REG_IB_STS2, 6, 4)
	s_mul_i32 s2, ttmp9, s2
	s_delay_alu instid0(SALU_CYCLE_1)
	s_add_co_i32 s3, s3, s2
	s_cmp_eq_u32 s4, 0
	s_cselect_b32 s2, ttmp9, s3
	s_mov_b32 s3, 0
	s_load_u8 s13, s[0:1], s2 offset:0x700
	s_add_nc_u64 s[4:5], s[0:1], s[2:3]
	s_mul_u64 s[6:7], s[2:3], 3
	s_mov_b32 s17, s3
	s_add_nc_u64 s[4:5], s[4:5], s[6:7]
	s_load_b32 s12, s[4:5], 0x840
	s_wait_kmcnt 0x0
	s_clause 0x2
	s_load_b64 s[8:9], s[0:1], s13 offset:0x0 scale_offset
	s_load_b64 s[10:11], s[0:1], s13 offset:0x200 scale_offset
	;; [unrolled: 1-line block ×3, first 2 shown]
	s_mov_b32 s5, s3
	s_lshl_b32 s2, s13, 3
	s_lshl_b32 s4, s13, 2
	s_add_nc_u64 s[6:7], s[0:1], s[2:3]
	s_sub_nc_u64 s[4:5], 0, s[4:5]
	s_delay_alu instid0(SALU_CYCLE_1) | instskip(SKIP_3) | instid1(SALU_CYCLE_1)
	s_add_nc_u64 s[4:5], s[6:7], s[4:5]
	s_load_b32 s4, s[4:5], 0x600
	s_wait_xcnt 0x0
	s_ashr_i32 s13, s12, 31
	s_lshl_b64 s[6:7], s[12:13], 17
	s_wait_kmcnt 0x0
	s_and_b32 s2, s10, 7
	s_add_nc_u64 s[18:19], s[8:9], s[6:7]
	s_and_b32 s16, s14, 3
	s_and_b64 s[18:19], s[18:19], 7
	s_or_b64 s[2:3], s[2:3], s[16:17]
	s_lshl_b64 s[12:13], s[12:13], 16
	s_or_b64 s[2:3], s[2:3], s[18:19]
	s_sub_nc_u64 s[12:13], s[14:15], s[12:13]
	s_cmp_eq_u64 s[2:3], 0
	s_mov_b32 s2, -1
	s_cbranch_scc0 .LBB34_5
; %bb.1:
	v_min_i64 v[2:3], 0x10000, s[12:13]
	v_dual_mov_b32 v9, 0 :: v_dual_lshlrev_b32 v8, 2, v0
	s_mov_b32 s3, exec_lo
	s_delay_alu instid0(VALU_DEP_1)
	v_cmpx_lt_i64_e64 v[8:9], v[2:3]
	s_cbranch_execz .LBB34_4
; %bb.2:
	s_load_b32 s2, s[0:1], 0xd54
	s_and_b32 s14, s4, 0x7fffffff
	s_sub_f32 s16, 1.0, s4
	v_dual_mov_b32 v1, v9 :: v_dual_lshlrev_b32 v8, 3, v0
	s_cmp_lt_f32 s14, 0.5
	s_mov_b32 s5, s4
	s_mov_b32 s17, s16
	v_mov_b64_e32 v[6:7], s[4:5]
	v_add_nc_u64_e32 v[8:9], s[6:7], v[8:9]
	s_cselect_b32 vcc_lo, -1, 0
	s_xor_b32 s18, s16, 0x80000000
	s_xor_b32 s5, s16, 0x80000000
	v_mov_b64_e32 v[12:13], s[16:17]
	v_mov_b64_e32 v[14:15], v[0:1]
	v_dual_mov_b32 v4, s4 :: v_dual_mov_b32 v5, s4
	v_dual_mov_b32 v10, s5 :: v_dual_mov_b32 v11, s18
	s_mov_b32 s15, 0
	s_wait_kmcnt 0x0
	s_and_b32 s14, s2, 0xffff
	s_mov_b32 s17, s15
	s_lshl_b32 s16, s14, 3
	s_mov_b32 s5, s15
.LBB34_3:                               ; =>This Inner Loop Header: Depth=1
	v_add_nc_u64_e32 v[16:17], s[8:9], v[8:9]
	v_add_nc_u64_e32 v[18:19], s[10:11], v[8:9]
	v_add_nc_u64_e32 v[14:15], s[14:15], v[14:15]
	v_add_nc_u64_e32 v[8:9], s[16:17], v[8:9]
	global_load_b64 v[20:21], v[16:17], off
	global_load_b64 v[22:23], v[18:19], off
	s_wait_xcnt 0x0
	v_lshlrev_b64_e32 v[18:19], 2, v[14:15]
	s_delay_alu instid0(VALU_DEP_1)
	v_cmp_ge_i64_e64 s2, v[18:19], v[2:3]
	s_or_b32 s5, s2, s5
	s_wait_loadcnt 0x1
	v_lshrrev_b32_e32 v1, 16, v21
	v_cvt_f32_f16_e32 v24, v21
	s_wait_loadcnt 0x0
	v_dual_lshrrev_b32 v21, 16, v20 :: v_dual_lshrrev_b32 v27, 16, v23
	v_cvt_f32_f16_e32 v26, v23
	v_lshrrev_b32_e32 v23, 16, v22
	v_cvt_f32_f16_e32 v20, v20
	v_cvt_f32_f16_e32 v22, v22
	;; [unrolled: 1-line block ×6, first 2 shown]
	v_sub_f32_e32 v28, v22, v20
	s_delay_alu instid0(VALU_DEP_3) | instskip(NEXT) | instid1(VALU_DEP_3)
	v_dual_sub_f32 v30, v26, v24 :: v_dual_sub_f32 v31, v27, v25
	v_sub_f32_e32 v29, v23, v21
	s_delay_alu instid0(VALU_DEP_2) | instskip(NEXT) | instid1(VALU_DEP_2)
	v_pk_fma_f32 v[24:25], v[4:5], v[30:31], v[24:25]
	v_pk_fma_f32 v[20:21], v[6:7], v[28:29], v[20:21]
	v_pk_fma_f32 v[22:23], v[12:13], v[28:29], v[22:23] neg_lo:[1,0,0] neg_hi:[1,0,0]
	v_pk_fma_f32 v[26:27], v[10:11], v[30:31], v[26:27]
	s_delay_alu instid0(VALU_DEP_1) | instskip(NEXT) | instid1(VALU_DEP_2)
	v_dual_cndmask_b32 v1, v23, v21, vcc_lo :: v_dual_cndmask_b32 v23, v26, v24, vcc_lo
	v_dual_cndmask_b32 v21, v27, v25 :: v_dual_cndmask_b32 v20, v22, v20
	s_delay_alu instid0(VALU_DEP_1) | instskip(NEXT) | instid1(VALU_DEP_2)
	v_cvt_pk_f16_f32 v19, v23, v21
	v_cvt_pk_f16_f32 v18, v20, v1
	global_store_b64 v[16:17], v[18:19], off
	s_wait_xcnt 0x0
	s_and_not1_b32 exec_lo, exec_lo, s5
	s_cbranch_execnz .LBB34_3
.LBB34_4:
	s_or_b32 exec_lo, exec_lo, s3
	s_mov_b32 s2, 0
.LBB34_5:
	s_delay_alu instid0(SALU_CYCLE_1)
	s_and_not1_b32 vcc_lo, exec_lo, s2
	s_cbranch_vccnz .LBB34_25
; %bb.6:
	v_cmp_lt_i64_e64 s2, s[12:13], 1
	s_and_b32 vcc_lo, exec_lo, s2
	s_cbranch_vccnz .LBB34_25
; %bb.7:
	s_load_b32 s0, s[0:1], 0xd54
	v_min_i64 v[2:3], 0x10000, s[12:13]
	v_min_u64 v[4:5], 0x10000, s[12:13]
	v_dual_mov_b32 v1, 0 :: v_dual_lshlrev_b32 v12, 1, v0
	s_wait_xcnt 0x0
	s_and_b32 s1, s4, 0x7fffffff
	s_mov_b32 s3, 0
	s_sub_f32 s5, 1.0, s4
	v_dual_mov_b32 v13, v1 :: v_dual_mov_b32 v27, v1
	s_mov_b32 s13, s3
	s_mov_b32 s15, s3
	;; [unrolled: 1-line block ×3, first 2 shown]
	s_delay_alu instid0(VALU_DEP_1) | instskip(SKIP_3) | instid1(SALU_CYCLE_1)
	v_add_nc_u64_e32 v[8:9], s[8:9], v[12:13]
	v_add_nc_u64_e32 v[10:11], s[10:11], v[12:13]
	s_wait_kmcnt 0x0
	s_and_b32 s2, s0, 0xffff
	s_lshl_b32 s14, s2, 1
	s_cmp_lt_f32 s1, 0.5
	v_add_nc_u64_e32 v[6:7], s[2:3], v[0:1]
	v_mad_nc_u64_u32 v[18:19], s2, 6, v[12:13]
	s_mul_i32 s16, s2, 3
	s_cselect_b32 s0, -1, 0
	s_lshl_b32 s12, s2, 2
	v_add_nc_u64_e32 v[14:15], s[14:15], v[0:1]
	v_add_nc_u64_e32 v[24:25], s[12:13], v[12:13]
	v_lshlrev_b32_e32 v26, 1, v6
	v_add_nc_u64_e32 v[12:13], s[16:17], v[0:1]
	v_add_nc_u64_e32 v[16:17], s[8:9], v[18:19]
	;; [unrolled: 1-line block ×3, first 2 shown]
	s_delay_alu instid0(VALU_DEP_4)
	v_add_nc_u64_e32 v[20:21], s[8:9], v[26:27]
	v_add_nc_u64_e32 v[22:23], s[8:9], v[24:25]
	;; [unrolled: 1-line block ×4, first 2 shown]
	s_lshl_b32 s8, s2, 3
	s_mov_b32 s9, s3
	s_mov_b64 s[10:11], 0
	s_branch .LBB34_9
.LBB34_8:                               ;   in Loop: Header=BB34_9 Depth=1
	s_wait_xcnt 0x0
	s_or_b32 exec_lo, exec_lo, s1
	s_add_nc_u64 s[10:11], s[10:11], s[12:13]
	v_add_nc_u64_e32 v[8:9], s[8:9], v[8:9]
	v_cmp_ge_i64_e32 vcc_lo, s[10:11], v[2:3]
	v_add_nc_u64_e32 v[10:11], s[8:9], v[10:11]
	v_add_nc_u64_e32 v[16:17], s[8:9], v[16:17]
	;; [unrolled: 1-line block ×7, first 2 shown]
	s_cbranch_vccnz .LBB34_25
.LBB34_9:                               ; =>This Inner Loop Header: Depth=1
	v_add_nc_u64_e32 v[28:29], s[10:11], v[0:1]
	v_mov_b32_e32 v30, 0
	s_delay_alu instid0(VALU_DEP_2)
	v_cmp_lt_u64_e32 vcc_lo, v[28:29], v[4:5]
	v_mov_b32_e32 v29, 0
	s_and_saveexec_b32 s1, vcc_lo
	s_cbranch_execz .LBB34_11
; %bb.10:                               ;   in Loop: Header=BB34_9 Depth=1
	v_add_nc_u64_e32 v[28:29], s[6:7], v[8:9]
	v_add_nc_u64_e32 v[30:31], s[6:7], v[10:11]
	global_load_u16 v32, v[28:29], off
	global_load_u16 v33, v[30:31], off
	s_wait_loadcnt 0x1
	s_wait_xcnt 0x1
	v_cvt_f32_f16_e32 v29, v32
	s_wait_loadcnt 0x0
	v_cvt_f32_f16_e32 v30, v33
.LBB34_11:                              ;   in Loop: Header=BB34_9 Depth=1
	s_or_b32 exec_lo, exec_lo, s1
	v_add_nc_u64_e32 v[32:33], s[10:11], v[6:7]
	v_dual_mov_b32 v28, 0 :: v_dual_mov_b32 v31, 0
	s_delay_alu instid0(VALU_DEP_2)
	v_cmp_lt_u64_e64 s1, v[32:33], v[4:5]
	v_mov_b32_e32 v32, 0
	s_and_saveexec_b32 s2, s1
	s_cbranch_execz .LBB34_13
; %bb.12:                               ;   in Loop: Header=BB34_9 Depth=1
	v_add_nc_u64_e32 v[32:33], s[6:7], v[20:21]
	v_add_nc_u64_e32 v[34:35], s[6:7], v[26:27]
	global_load_u16 v31, v[32:33], off
	global_load_u16 v36, v[34:35], off
	s_wait_loadcnt 0x1
	v_cvt_f32_f16_e32 v31, v31
	s_wait_loadcnt 0x0
	s_wait_xcnt 0x1
	v_cvt_f32_f16_e32 v32, v36
.LBB34_13:                              ;   in Loop: Header=BB34_9 Depth=1
	s_wait_xcnt 0x0
	s_or_b32 exec_lo, exec_lo, s2
	v_add_nc_u64_e32 v[34:35], s[10:11], v[14:15]
	v_mov_b32_e32 v33, 0
	s_delay_alu instid0(VALU_DEP_2)
	v_cmp_lt_u64_e64 s2, v[34:35], v[4:5]
	s_and_saveexec_b32 s3, s2
	s_cbranch_execz .LBB34_15
; %bb.14:                               ;   in Loop: Header=BB34_9 Depth=1
	v_add_nc_u64_e32 v[34:35], s[6:7], v[22:23]
	v_add_nc_u64_e32 v[36:37], s[6:7], v[24:25]
	global_load_u16 v28, v[34:35], off
	global_load_u16 v38, v[36:37], off
	s_wait_loadcnt 0x1
	v_cvt_f32_f16_e32 v33, v28
	s_wait_loadcnt 0x0
	v_cvt_f32_f16_e32 v28, v38
.LBB34_15:                              ;   in Loop: Header=BB34_9 Depth=1
	s_wait_xcnt 0x0
	s_or_b32 exec_lo, exec_lo, s3
	v_add_nc_u64_e32 v[34:35], s[10:11], v[12:13]
	s_delay_alu instid0(VALU_DEP_1)
	v_cmp_lt_u64_e64 s3, v[34:35], v[4:5]
	v_dual_mov_b32 v34, 0 :: v_dual_mov_b32 v35, 0
	s_and_saveexec_b32 s14, s3
	s_cbranch_execnz .LBB34_20
; %bb.16:                               ;   in Loop: Header=BB34_9 Depth=1
	s_or_b32 exec_lo, exec_lo, s14
	s_and_saveexec_b32 s14, vcc_lo
	s_cbranch_execnz .LBB34_21
.LBB34_17:                              ;   in Loop: Header=BB34_9 Depth=1
	s_or_b32 exec_lo, exec_lo, s14
	s_and_saveexec_b32 s14, s1
	s_cbranch_execnz .LBB34_22
.LBB34_18:                              ;   in Loop: Header=BB34_9 Depth=1
	s_or_b32 exec_lo, exec_lo, s14
	s_and_saveexec_b32 s1, s2
	s_cbranch_execnz .LBB34_23
.LBB34_19:                              ;   in Loop: Header=BB34_9 Depth=1
	s_or_b32 exec_lo, exec_lo, s1
	s_and_saveexec_b32 s1, s3
	s_cbranch_execz .LBB34_8
	s_branch .LBB34_24
.LBB34_20:                              ;   in Loop: Header=BB34_9 Depth=1
	v_add_nc_u64_e32 v[34:35], s[6:7], v[16:17]
	v_add_nc_u64_e32 v[36:37], s[6:7], v[18:19]
	global_load_u16 v38, v[34:35], off
	global_load_u16 v39, v[36:37], off
	s_wait_loadcnt 0x1
	s_wait_xcnt 0x1
	v_cvt_f32_f16_e32 v35, v38
	s_wait_loadcnt 0x0
	v_cvt_f32_f16_e32 v34, v39
	s_wait_xcnt 0x0
	s_or_b32 exec_lo, exec_lo, s14
	s_and_saveexec_b32 s14, vcc_lo
	s_cbranch_execz .LBB34_17
.LBB34_21:                              ;   in Loop: Header=BB34_9 Depth=1
	v_sub_f32_e32 v36, v30, v29
	s_delay_alu instid0(VALU_DEP_1) | instskip(SKIP_1) | instid1(VALU_DEP_2)
	v_dual_fmac_f32 v29, s4, v36 :: v_dual_fma_f32 v30, -s5, v36, v30
	v_add_nc_u64_e32 v[36:37], s[6:7], v[8:9]
	v_cndmask_b32_e64 v29, v30, v29, s0
	s_delay_alu instid0(VALU_DEP_1)
	v_cvt_f16_f32_e32 v29, v29
	global_store_b16 v[36:37], v29, off
	s_wait_xcnt 0x0
	s_or_b32 exec_lo, exec_lo, s14
	s_and_saveexec_b32 s14, s1
	s_cbranch_execz .LBB34_18
.LBB34_22:                              ;   in Loop: Header=BB34_9 Depth=1
	v_sub_f32_e32 v29, v32, v31
	s_delay_alu instid0(VALU_DEP_1) | instskip(NEXT) | instid1(VALU_DEP_1)
	v_dual_fmac_f32 v31, s4, v29 :: v_dual_fma_f32 v29, -s5, v29, v32
	v_cndmask_b32_e64 v29, v29, v31, s0
	v_add_nc_u64_e32 v[30:31], s[6:7], v[20:21]
	s_delay_alu instid0(VALU_DEP_2)
	v_cvt_f16_f32_e32 v29, v29
	global_store_b16 v[30:31], v29, off
	s_wait_xcnt 0x0
	s_or_b32 exec_lo, exec_lo, s14
	s_and_saveexec_b32 s1, s2
	s_cbranch_execz .LBB34_19
.LBB34_23:                              ;   in Loop: Header=BB34_9 Depth=1
	v_sub_f32_e32 v29, v28, v33
	s_delay_alu instid0(VALU_DEP_1) | instskip(NEXT) | instid1(VALU_DEP_1)
	v_dual_fmac_f32 v33, s4, v29 :: v_dual_fma_f32 v28, -s5, v29, v28
	v_cndmask_b32_e64 v30, v28, v33, s0
	v_add_nc_u64_e32 v[28:29], s[6:7], v[22:23]
	s_delay_alu instid0(VALU_DEP_2)
	v_cvt_f16_f32_e32 v30, v30
	global_store_b16 v[28:29], v30, off
	s_wait_xcnt 0x0
	s_or_b32 exec_lo, exec_lo, s1
	s_and_saveexec_b32 s1, s3
	s_cbranch_execz .LBB34_8
.LBB34_24:                              ;   in Loop: Header=BB34_9 Depth=1
	v_sub_f32_e32 v28, v34, v35
	s_delay_alu instid0(VALU_DEP_1) | instskip(NEXT) | instid1(VALU_DEP_1)
	v_dual_fmac_f32 v35, s4, v28 :: v_dual_fma_f32 v28, -s5, v28, v34
	v_cndmask_b32_e64 v30, v28, v35, s0
	v_add_nc_u64_e32 v[28:29], s[6:7], v[16:17]
	s_delay_alu instid0(VALU_DEP_2)
	v_cvt_f16_f32_e32 v30, v30
	global_store_b16 v[28:29], v30, off
	s_branch .LBB34_8
.LBB34_25:
	s_endpgm
	.section	.rodata,"a",@progbits
	.p2align	6, 0x0
	.amdhsa_kernel _ZN2at6native12_GLOBAL__N_125multi_tensor_apply_kernelINS1_28TensorListScalarListMetadataIfLi2EEENS1_26TernaryOpScalarListFunctorIN3c104HalfELi2ELi2ELi0EEEJNS0_11LerpFunctorIfEEEEEvT_T0_DpT1_
		.amdhsa_group_segment_fixed_size 0
		.amdhsa_private_segment_fixed_size 0
		.amdhsa_kernarg_size 3656
		.amdhsa_user_sgpr_count 2
		.amdhsa_user_sgpr_dispatch_ptr 0
		.amdhsa_user_sgpr_queue_ptr 0
		.amdhsa_user_sgpr_kernarg_segment_ptr 1
		.amdhsa_user_sgpr_dispatch_id 0
		.amdhsa_user_sgpr_kernarg_preload_length 0
		.amdhsa_user_sgpr_kernarg_preload_offset 0
		.amdhsa_user_sgpr_private_segment_size 0
		.amdhsa_wavefront_size32 1
		.amdhsa_uses_dynamic_stack 0
		.amdhsa_enable_private_segment 0
		.amdhsa_system_sgpr_workgroup_id_x 1
		.amdhsa_system_sgpr_workgroup_id_y 0
		.amdhsa_system_sgpr_workgroup_id_z 0
		.amdhsa_system_sgpr_workgroup_info 0
		.amdhsa_system_vgpr_workitem_id 0
		.amdhsa_next_free_vgpr 40
		.amdhsa_next_free_sgpr 20
		.amdhsa_named_barrier_count 0
		.amdhsa_reserve_vcc 1
		.amdhsa_float_round_mode_32 0
		.amdhsa_float_round_mode_16_64 0
		.amdhsa_float_denorm_mode_32 3
		.amdhsa_float_denorm_mode_16_64 3
		.amdhsa_fp16_overflow 0
		.amdhsa_memory_ordered 1
		.amdhsa_forward_progress 1
		.amdhsa_inst_pref_size 13
		.amdhsa_round_robin_scheduling 0
		.amdhsa_exception_fp_ieee_invalid_op 0
		.amdhsa_exception_fp_denorm_src 0
		.amdhsa_exception_fp_ieee_div_zero 0
		.amdhsa_exception_fp_ieee_overflow 0
		.amdhsa_exception_fp_ieee_underflow 0
		.amdhsa_exception_fp_ieee_inexact 0
		.amdhsa_exception_int_div_zero 0
	.end_amdhsa_kernel
	.section	.text._ZN2at6native12_GLOBAL__N_125multi_tensor_apply_kernelINS1_28TensorListScalarListMetadataIfLi2EEENS1_26TernaryOpScalarListFunctorIN3c104HalfELi2ELi2ELi0EEEJNS0_11LerpFunctorIfEEEEEvT_T0_DpT1_,"axG",@progbits,_ZN2at6native12_GLOBAL__N_125multi_tensor_apply_kernelINS1_28TensorListScalarListMetadataIfLi2EEENS1_26TernaryOpScalarListFunctorIN3c104HalfELi2ELi2ELi0EEEJNS0_11LerpFunctorIfEEEEEvT_T0_DpT1_,comdat
.Lfunc_end34:
	.size	_ZN2at6native12_GLOBAL__N_125multi_tensor_apply_kernelINS1_28TensorListScalarListMetadataIfLi2EEENS1_26TernaryOpScalarListFunctorIN3c104HalfELi2ELi2ELi0EEEJNS0_11LerpFunctorIfEEEEEvT_T0_DpT1_, .Lfunc_end34-_ZN2at6native12_GLOBAL__N_125multi_tensor_apply_kernelINS1_28TensorListScalarListMetadataIfLi2EEENS1_26TernaryOpScalarListFunctorIN3c104HalfELi2ELi2ELi0EEEJNS0_11LerpFunctorIfEEEEEvT_T0_DpT1_
                                        ; -- End function
	.set _ZN2at6native12_GLOBAL__N_125multi_tensor_apply_kernelINS1_28TensorListScalarListMetadataIfLi2EEENS1_26TernaryOpScalarListFunctorIN3c104HalfELi2ELi2ELi0EEEJNS0_11LerpFunctorIfEEEEEvT_T0_DpT1_.num_vgpr, 40
	.set _ZN2at6native12_GLOBAL__N_125multi_tensor_apply_kernelINS1_28TensorListScalarListMetadataIfLi2EEENS1_26TernaryOpScalarListFunctorIN3c104HalfELi2ELi2ELi0EEEJNS0_11LerpFunctorIfEEEEEvT_T0_DpT1_.num_agpr, 0
	.set _ZN2at6native12_GLOBAL__N_125multi_tensor_apply_kernelINS1_28TensorListScalarListMetadataIfLi2EEENS1_26TernaryOpScalarListFunctorIN3c104HalfELi2ELi2ELi0EEEJNS0_11LerpFunctorIfEEEEEvT_T0_DpT1_.numbered_sgpr, 20
	.set _ZN2at6native12_GLOBAL__N_125multi_tensor_apply_kernelINS1_28TensorListScalarListMetadataIfLi2EEENS1_26TernaryOpScalarListFunctorIN3c104HalfELi2ELi2ELi0EEEJNS0_11LerpFunctorIfEEEEEvT_T0_DpT1_.num_named_barrier, 0
	.set _ZN2at6native12_GLOBAL__N_125multi_tensor_apply_kernelINS1_28TensorListScalarListMetadataIfLi2EEENS1_26TernaryOpScalarListFunctorIN3c104HalfELi2ELi2ELi0EEEJNS0_11LerpFunctorIfEEEEEvT_T0_DpT1_.private_seg_size, 0
	.set _ZN2at6native12_GLOBAL__N_125multi_tensor_apply_kernelINS1_28TensorListScalarListMetadataIfLi2EEENS1_26TernaryOpScalarListFunctorIN3c104HalfELi2ELi2ELi0EEEJNS0_11LerpFunctorIfEEEEEvT_T0_DpT1_.uses_vcc, 1
	.set _ZN2at6native12_GLOBAL__N_125multi_tensor_apply_kernelINS1_28TensorListScalarListMetadataIfLi2EEENS1_26TernaryOpScalarListFunctorIN3c104HalfELi2ELi2ELi0EEEJNS0_11LerpFunctorIfEEEEEvT_T0_DpT1_.uses_flat_scratch, 0
	.set _ZN2at6native12_GLOBAL__N_125multi_tensor_apply_kernelINS1_28TensorListScalarListMetadataIfLi2EEENS1_26TernaryOpScalarListFunctorIN3c104HalfELi2ELi2ELi0EEEJNS0_11LerpFunctorIfEEEEEvT_T0_DpT1_.has_dyn_sized_stack, 0
	.set _ZN2at6native12_GLOBAL__N_125multi_tensor_apply_kernelINS1_28TensorListScalarListMetadataIfLi2EEENS1_26TernaryOpScalarListFunctorIN3c104HalfELi2ELi2ELi0EEEJNS0_11LerpFunctorIfEEEEEvT_T0_DpT1_.has_recursion, 0
	.set _ZN2at6native12_GLOBAL__N_125multi_tensor_apply_kernelINS1_28TensorListScalarListMetadataIfLi2EEENS1_26TernaryOpScalarListFunctorIN3c104HalfELi2ELi2ELi0EEEJNS0_11LerpFunctorIfEEEEEvT_T0_DpT1_.has_indirect_call, 0
	.section	.AMDGPU.csdata,"",@progbits
; Kernel info:
; codeLenInByte = 1580
; TotalNumSgprs: 22
; NumVgprs: 40
; ScratchSize: 0
; MemoryBound: 0
; FloatMode: 240
; IeeeMode: 1
; LDSByteSize: 0 bytes/workgroup (compile time only)
; SGPRBlocks: 0
; VGPRBlocks: 2
; NumSGPRsForWavesPerEU: 22
; NumVGPRsForWavesPerEU: 40
; NamedBarCnt: 0
; Occupancy: 16
; WaveLimiterHint : 0
; COMPUTE_PGM_RSRC2:SCRATCH_EN: 0
; COMPUTE_PGM_RSRC2:USER_SGPR: 2
; COMPUTE_PGM_RSRC2:TRAP_HANDLER: 0
; COMPUTE_PGM_RSRC2:TGID_X_EN: 1
; COMPUTE_PGM_RSRC2:TGID_Y_EN: 0
; COMPUTE_PGM_RSRC2:TGID_Z_EN: 0
; COMPUTE_PGM_RSRC2:TIDIG_COMP_CNT: 0
	.section	.text._ZN2at6native12_GLOBAL__N_125multi_tensor_apply_kernelINS1_28TensorListScalarListMetadataIfLi2EEENS1_26TernaryOpScalarListFunctorIN3c108BFloat16ELi2ELi2ELi0EEEJNS0_11LerpFunctorIfEEEEEvT_T0_DpT1_,"axG",@progbits,_ZN2at6native12_GLOBAL__N_125multi_tensor_apply_kernelINS1_28TensorListScalarListMetadataIfLi2EEENS1_26TernaryOpScalarListFunctorIN3c108BFloat16ELi2ELi2ELi0EEEJNS0_11LerpFunctorIfEEEEEvT_T0_DpT1_,comdat
	.globl	_ZN2at6native12_GLOBAL__N_125multi_tensor_apply_kernelINS1_28TensorListScalarListMetadataIfLi2EEENS1_26TernaryOpScalarListFunctorIN3c108BFloat16ELi2ELi2ELi0EEEJNS0_11LerpFunctorIfEEEEEvT_T0_DpT1_ ; -- Begin function _ZN2at6native12_GLOBAL__N_125multi_tensor_apply_kernelINS1_28TensorListScalarListMetadataIfLi2EEENS1_26TernaryOpScalarListFunctorIN3c108BFloat16ELi2ELi2ELi0EEEJNS0_11LerpFunctorIfEEEEEvT_T0_DpT1_
	.p2align	8
	.type	_ZN2at6native12_GLOBAL__N_125multi_tensor_apply_kernelINS1_28TensorListScalarListMetadataIfLi2EEENS1_26TernaryOpScalarListFunctorIN3c108BFloat16ELi2ELi2ELi0EEEJNS0_11LerpFunctorIfEEEEEvT_T0_DpT1_,@function
_ZN2at6native12_GLOBAL__N_125multi_tensor_apply_kernelINS1_28TensorListScalarListMetadataIfLi2EEENS1_26TernaryOpScalarListFunctorIN3c108BFloat16ELi2ELi2ELi0EEEJNS0_11LerpFunctorIfEEEEEvT_T0_DpT1_: ; @_ZN2at6native12_GLOBAL__N_125multi_tensor_apply_kernelINS1_28TensorListScalarListMetadataIfLi2EEENS1_26TernaryOpScalarListFunctorIN3c108BFloat16ELi2ELi2ELi0EEEJNS0_11LerpFunctorIfEEEEEvT_T0_DpT1_
; %bb.0:
	s_bfe_u32 s2, ttmp6, 0x4000c
	s_and_b32 s3, ttmp6, 15
	s_add_co_i32 s2, s2, 1
	s_getreg_b32 s4, hwreg(HW_REG_IB_STS2, 6, 4)
	s_mul_i32 s2, ttmp9, s2
	s_delay_alu instid0(SALU_CYCLE_1)
	s_add_co_i32 s3, s3, s2
	s_cmp_eq_u32 s4, 0
	s_cselect_b32 s2, ttmp9, s3
	s_mov_b32 s3, 0
	s_load_u8 s14, s[0:1], s2 offset:0x700
	s_add_nc_u64 s[4:5], s[0:1], s[2:3]
	s_mul_u64 s[6:7], s[2:3], 3
	s_delay_alu instid0(SALU_CYCLE_1)
	s_add_nc_u64 s[4:5], s[4:5], s[6:7]
	s_load_b32 s6, s[4:5], 0x840
	s_wait_kmcnt 0x0
	s_clause 0x2
	s_load_b64 s[8:9], s[0:1], s14 offset:0x0 scale_offset
	s_load_b64 s[10:11], s[0:1], s14 offset:0x200 scale_offset
	;; [unrolled: 1-line block ×3, first 2 shown]
	s_mov_b32 s5, s3
	s_lshl_b32 s2, s14, 3
	s_lshl_b32 s4, s14, 2
	s_wait_xcnt 0x0
	s_add_nc_u64 s[14:15], s[0:1], s[2:3]
	s_sub_nc_u64 s[4:5], 0, s[4:5]
	s_delay_alu instid0(SALU_CYCLE_1)
	s_add_nc_u64 s[4:5], s[14:15], s[4:5]
	s_mov_b32 s15, s3
	s_load_b32 s16, s[4:5], 0x600
	s_ashr_i32 s7, s6, 31
	s_wait_xcnt 0x0
	s_lshl_b64 s[4:5], s[6:7], 17
	s_wait_kmcnt 0x0
	s_and_b32 s2, s10, 7
	s_add_nc_u64 s[18:19], s[8:9], s[4:5]
	s_and_b32 s14, s12, 3
	s_and_b64 s[18:19], s[18:19], 7
	s_or_b64 s[2:3], s[2:3], s[14:15]
	s_lshl_b64 s[6:7], s[6:7], 16
	s_or_b64 s[2:3], s[2:3], s[18:19]
	s_sub_nc_u64 s[12:13], s[12:13], s[6:7]
	s_cmp_eq_u64 s[2:3], 0
	s_mov_b32 s2, -1
	s_cbranch_scc0 .LBB35_5
; %bb.1:
	v_min_i64 v[2:3], 0x10000, s[12:13]
	v_dual_mov_b32 v5, 0 :: v_dual_lshlrev_b32 v4, 2, v0
	s_mov_b32 s17, exec_lo
	s_delay_alu instid0(VALU_DEP_1)
	v_cmpx_lt_i64_e64 v[4:5], v[2:3]
	s_cbranch_execz .LBB35_4
; %bb.2:
	s_load_b32 s2, s[0:1], 0xd54
	v_dual_mov_b32 v1, v5 :: v_dual_lshlrev_b32 v4, 3, v0
	s_and_b32 s3, s16, 0x7fffffff
	s_sub_f32 s18, 1.0, s16
	s_cmp_lt_f32 s3, 0.5
	s_delay_alu instid0(VALU_DEP_1)
	v_mov_b64_e32 v[6:7], v[0:1]
	v_add_nc_u64_e32 v[4:5], s[4:5], v[4:5]
	s_mov_b32 s7, 0
	s_cselect_b32 vcc_lo, -1, 0
	s_mov_b32 s15, s7
	s_mov_b32 s19, s7
	s_wait_kmcnt 0x0
	s_and_b32 s6, s2, 0xffff
	s_delay_alu instid0(SALU_CYCLE_1)
	s_lshl_b32 s14, s6, 3
.LBB35_3:                               ; =>This Inner Loop Header: Depth=1
	v_add_nc_u64_e32 v[8:9], s[8:9], v[4:5]
	v_add_nc_u64_e32 v[10:11], s[10:11], v[4:5]
	v_add_nc_u64_e32 v[6:7], s[6:7], v[6:7]
	v_add_nc_u64_e32 v[4:5], s[14:15], v[4:5]
	global_load_b64 v[12:13], v[8:9], off
	global_load_b64 v[14:15], v[10:11], off
	s_wait_xcnt 0x0
	v_lshlrev_b64_e32 v[10:11], 2, v[6:7]
	s_wait_loadcnt 0x0
	v_dual_lshlrev_b32 v1, 16, v12 :: v_dual_lshlrev_b32 v16, 16, v14
	v_and_b32_e32 v17, 0xffff0000, v12
	v_and_b32_e32 v18, 0xffff0000, v14
	v_alignbit_b32 v19, v13, v12, 16
	v_alignbit_b32 v20, v15, v14, 16
	v_and_b32_e32 v21, 0xffff0000, v13
	v_and_b32_e32 v22, 0xffff0000, v15
	v_sub_f32_e32 v1, v16, v1
	s_delay_alu instid0(VALU_DEP_2) | instskip(NEXT) | instid1(VALU_DEP_2)
	v_sub_f32_e32 v21, v22, v21
	v_fma_mix_f32_bf16 v22, s16, v1, v12 op_sel_hi:[0,0,1]
	v_fma_mix_f32_bf16 v1, -s18, v1, v14 op_sel_hi:[0,0,1]
	v_sub_f32_e32 v16, v18, v17
	v_and_b32_e32 v17, 0xffff0000, v19
	v_and_b32_e32 v18, 0xffff0000, v20
	s_delay_alu instid0(VALU_DEP_4) | instskip(NEXT) | instid1(VALU_DEP_4)
	v_cndmask_b32_e32 v1, v1, v22, vcc_lo
	v_fma_mix_f32_bf16 v12, s16, v16, v12 op_sel:[0,0,1] op_sel_hi:[0,0,1]
	v_fma_mix_f32_bf16 v14, -s18, v16, v14 op_sel:[0,0,1] op_sel_hi:[0,0,1]
	s_delay_alu instid0(VALU_DEP_4) | instskip(NEXT) | instid1(VALU_DEP_4)
	v_sub_f32_e32 v16, v18, v17
	v_cmp_o_f32_e64 s3, v1, v1
	s_delay_alu instid0(VALU_DEP_3) | instskip(NEXT) | instid1(VALU_DEP_3)
	v_cndmask_b32_e32 v12, v14, v12, vcc_lo
	v_fma_mix_f32_bf16 v14, s16, v16, v19 op_sel:[0,0,1] op_sel_hi:[0,0,1]
	v_fma_mix_f32_bf16 v16, -s18, v16, v20 op_sel:[0,0,1] op_sel_hi:[0,0,1]
	s_delay_alu instid0(VALU_DEP_3) | instskip(SKIP_1) | instid1(VALU_DEP_3)
	v_bfe_u32 v17, v12, 16, 1
	v_cmp_o_f32_e64 s2, v12, v12
	v_cndmask_b32_e32 v14, v16, v14, vcc_lo
	v_fma_mix_f32_bf16 v13, s16, v21, v13 op_sel:[0,0,1] op_sel_hi:[0,0,1]
	v_fma_mix_f32_bf16 v15, -s18, v21, v15 op_sel:[0,0,1] op_sel_hi:[0,0,1]
	v_add3_u32 v17, v12, v17, 0x7fff
	s_delay_alu instid0(VALU_DEP_4) | instskip(NEXT) | instid1(VALU_DEP_2)
	v_bfe_u32 v18, v14, 16, 1
	v_and_b32_e32 v17, 0xffff0000, v17
	s_delay_alu instid0(VALU_DEP_2) | instskip(SKIP_2) | instid1(VALU_DEP_1)
	v_add3_u32 v18, v14, v18, 0x7fff
	v_cndmask_b32_e32 v13, v15, v13, vcc_lo
	v_bfe_u32 v15, v1, 16, 1
	v_add3_u32 v15, v1, v15, 0x7fff
	s_delay_alu instid0(VALU_DEP_1) | instskip(NEXT) | instid1(VALU_DEP_1)
	v_lshrrev_b32_e32 v15, 16, v15
	v_cndmask_b32_e64 v1, 0x7fc0, v15, s3
	v_lshrrev_b32_e32 v15, 16, v18
	v_bfe_u32 v16, v13, 16, 1
	s_delay_alu instid0(VALU_DEP_1) | instskip(NEXT) | instid1(VALU_DEP_1)
	v_add3_u32 v16, v13, v16, 0x7fff
	v_and_b32_e32 v12, 0xffff0000, v16
	v_cndmask_b32_e64 v16, 0x7fc00000, v17, s2
	v_cmp_o_f32_e64 s2, v13, v13
	s_delay_alu instid0(VALU_DEP_2) | instskip(NEXT) | instid1(VALU_DEP_2)
	v_or_b32_e32 v1, v1, v16
	v_cndmask_b32_e64 v12, 0x7fc00000, v12, s2
	v_cmp_o_f32_e64 s2, v14, v14
	s_delay_alu instid0(VALU_DEP_1) | instskip(SKIP_2) | instid1(VALU_DEP_3)
	v_cndmask_b32_e64 v13, 0x7fc0, v15, s2
	v_cmp_ge_i64_e64 s2, v[10:11], v[2:3]
	v_or3_b32 v10, v1, 0, 0
	v_or3_b32 v11, 0, v13, v12
	s_or_b32 s19, s2, s19
	global_store_b64 v[8:9], v[10:11], off
	s_wait_xcnt 0x0
	s_and_not1_b32 exec_lo, exec_lo, s19
	s_cbranch_execnz .LBB35_3
.LBB35_4:
	s_or_b32 exec_lo, exec_lo, s17
	s_mov_b32 s2, 0
.LBB35_5:
	s_delay_alu instid0(SALU_CYCLE_1)
	s_and_not1_b32 vcc_lo, exec_lo, s2
	s_cbranch_vccnz .LBB35_25
; %bb.6:
	v_cmp_lt_i64_e64 s2, s[12:13], 1
	s_and_b32 vcc_lo, exec_lo, s2
	s_cbranch_vccnz .LBB35_25
; %bb.7:
	s_load_b32 s0, s[0:1], 0xd54
	v_min_i64 v[2:3], 0x10000, s[12:13]
	v_min_u64 v[6:7], 0x10000, s[12:13]
	v_dual_mov_b32 v4, 0 :: v_dual_lshlrev_b32 v14, 1, v0
	s_mov_b32 s7, 0
	s_wait_xcnt 0x0
	s_and_b32 s1, s16, 0x7fffffff
	s_mov_b32 s3, s7
	v_dual_mov_b32 v15, v4 :: v_dual_mov_b32 v1, v4
	s_mov_b32 s13, s7
	s_mov_b32 s15, s7
	s_delay_alu instid0(VALU_DEP_1) | instskip(SKIP_3) | instid1(SALU_CYCLE_1)
	v_add_nc_u64_e32 v[10:11], s[8:9], v[14:15]
	v_add_nc_u64_e32 v[12:13], s[10:11], v[14:15]
	s_wait_kmcnt 0x0
	s_and_b32 s2, s0, 0xffff
	s_lshl_b32 s12, s2, 1
	s_cmp_lt_f32 s1, 0.5
	v_add_nc_u64_e32 v[8:9], s[2:3], v[0:1]
	v_mad_nc_u64_u32 v[20:21], s2, 6, v[14:15]
	v_mov_b32_e32 v29, v4
	s_cselect_b32 s0, -1, 0
	s_lshl_b32 s6, s2, 2
	s_mul_i32 s14, s2, 3
	v_add_nc_u64_e32 v[26:27], s[6:7], v[14:15]
	v_lshlrev_b32_e32 v28, 1, v8
	v_add_nc_u64_e32 v[14:15], s[14:15], v[0:1]
	v_add_nc_u64_e32 v[16:17], s[12:13], v[0:1]
	s_sub_f32 s12, 1.0, s16
	v_add_nc_u64_e32 v[18:19], s[8:9], v[20:21]
	v_add_nc_u64_e32 v[20:21], s[10:11], v[20:21]
	;; [unrolled: 1-line block ×6, first 2 shown]
	s_lshl_b32 s8, s2, 3
	s_mov_b32 s9, s7
	s_mov_b64 s[10:11], 0
	s_branch .LBB35_9
.LBB35_8:                               ;   in Loop: Header=BB35_9 Depth=1
	s_wait_xcnt 0x0
	s_or_b32 exec_lo, exec_lo, s1
	s_add_nc_u64 s[10:11], s[10:11], s[6:7]
	v_add_nc_u64_e32 v[10:11], s[8:9], v[10:11]
	v_cmp_ge_i64_e32 vcc_lo, s[10:11], v[2:3]
	v_add_nc_u64_e32 v[12:13], s[8:9], v[12:13]
	v_add_nc_u64_e32 v[18:19], s[8:9], v[18:19]
	;; [unrolled: 1-line block ×7, first 2 shown]
	s_cbranch_vccnz .LBB35_25
.LBB35_9:                               ; =>This Inner Loop Header: Depth=1
	v_add_nc_u64_e32 v[32:33], s[10:11], v[0:1]
	v_mov_b64_e32 v[30:31], 0
	s_delay_alu instid0(VALU_DEP_2)
	v_cmp_lt_u64_e32 vcc_lo, v[32:33], v[6:7]
	v_mov_b64_e32 v[32:33], 0
	s_and_saveexec_b32 s1, vcc_lo
	s_cbranch_execz .LBB35_11
; %bb.10:                               ;   in Loop: Header=BB35_9 Depth=1
	v_add_nc_u64_e32 v[30:31], s[4:5], v[10:11]
	v_add_nc_u64_e32 v[32:33], s[4:5], v[12:13]
	global_load_u16 v5, v[30:31], off
	global_load_u16 v34, v[32:33], off
	s_wait_xcnt 0x0
	v_dual_mov_b32 v33, s7 :: v_dual_mov_b32 v31, s7
	s_wait_loadcnt 0x1
	v_and_b32_e32 v32, 0xffff, v5
	s_wait_loadcnt 0x0
	v_and_b32_e32 v30, 0xffff, v34
.LBB35_11:                              ;   in Loop: Header=BB35_9 Depth=1
	s_or_b32 exec_lo, exec_lo, s1
	v_add_nc_u64_e32 v[34:35], s[10:11], v[8:9]
	s_delay_alu instid0(VALU_DEP_1)
	v_cmp_lt_u64_e64 s1, v[34:35], v[6:7]
	s_and_saveexec_b32 s2, s1
	s_cbranch_execz .LBB35_13
; %bb.12:                               ;   in Loop: Header=BB35_9 Depth=1
	v_add_nc_u64_e32 v[34:35], s[4:5], v[22:23]
	v_add_nc_u64_e32 v[36:37], s[4:5], v[28:29]
	global_load_u16 v5, v[34:35], off
	global_load_u16 v38, v[36:37], off
	s_wait_loadcnt 0x1
	v_lshl_or_b32 v32, v5, 16, v32
	s_wait_loadcnt 0x0
	v_lshl_or_b32 v30, v38, 16, v30
.LBB35_13:                              ;   in Loop: Header=BB35_9 Depth=1
	s_wait_xcnt 0x0
	s_or_b32 exec_lo, exec_lo, s2
	v_add_nc_u64_e32 v[34:35], s[10:11], v[16:17]
	s_delay_alu instid0(VALU_DEP_1) | instskip(SKIP_2) | instid1(SALU_CYCLE_1)
	v_cmp_lt_u64_e64 s2, v[34:35], v[6:7]
	v_cmp_ge_u64_e64 s3, v[34:35], v[6:7]
	s_and_saveexec_b32 s13, s3
	s_xor_b32 s3, exec_lo, s13
	s_delay_alu instid0(SALU_CYCLE_1)
	s_and_not1_saveexec_b32 s3, s3
	s_cbranch_execz .LBB35_15
; %bb.14:                               ;   in Loop: Header=BB35_9 Depth=1
	v_add_nc_u64_e32 v[34:35], s[4:5], v[24:25]
	v_add_nc_u64_e32 v[36:37], s[4:5], v[26:27]
	global_load_u16 v5, v[34:35], off
	global_load_u16 v38, v[36:37], off
	s_wait_loadcnt 0x1
	v_or_b32_e32 v33, v5, v33
	s_wait_loadcnt 0x0
	v_or_b32_e32 v31, v38, v31
.LBB35_15:                              ;   in Loop: Header=BB35_9 Depth=1
	s_wait_xcnt 0x0
	s_or_b32 exec_lo, exec_lo, s3
	v_add_nc_u64_e32 v[34:35], s[10:11], v[14:15]
	s_delay_alu instid0(VALU_DEP_1)
	v_cmp_lt_u64_e64 s3, v[34:35], v[6:7]
	s_and_saveexec_b32 s13, s3
	s_cbranch_execnz .LBB35_20
; %bb.16:                               ;   in Loop: Header=BB35_9 Depth=1
	s_or_b32 exec_lo, exec_lo, s13
	s_and_saveexec_b32 s13, vcc_lo
	s_cbranch_execnz .LBB35_21
.LBB35_17:                              ;   in Loop: Header=BB35_9 Depth=1
	s_or_b32 exec_lo, exec_lo, s13
	s_and_saveexec_b32 s13, s1
	s_cbranch_execnz .LBB35_22
.LBB35_18:                              ;   in Loop: Header=BB35_9 Depth=1
	s_or_b32 exec_lo, exec_lo, s13
	s_and_saveexec_b32 s1, s2
	s_cbranch_execnz .LBB35_23
.LBB35_19:                              ;   in Loop: Header=BB35_9 Depth=1
	s_or_b32 exec_lo, exec_lo, s1
	s_and_saveexec_b32 s1, s3
	s_cbranch_execz .LBB35_8
	s_branch .LBB35_24
.LBB35_20:                              ;   in Loop: Header=BB35_9 Depth=1
	v_add_nc_u64_e32 v[34:35], s[4:5], v[20:21]
	v_add_nc_u64_e32 v[36:37], s[4:5], v[18:19]
	global_load_u16 v5, v[34:35], off
	global_load_u16 v38, v[36:37], off
	s_wait_loadcnt 0x0
	s_wait_xcnt 0x1
	v_dual_lshlrev_b32 v5, 16, v5 :: v_dual_lshlrev_b32 v34, 16, v38
	s_delay_alu instid0(VALU_DEP_1) | instskip(NEXT) | instid1(VALU_DEP_2)
	v_add_nc_u64_e32 v[30:31], v[4:5], v[30:31]
	v_or_b32_e32 v33, v34, v33
	s_wait_xcnt 0x0
	s_or_b32 exec_lo, exec_lo, s13
	s_and_saveexec_b32 s13, vcc_lo
	s_cbranch_execz .LBB35_17
.LBB35_21:                              ;   in Loop: Header=BB35_9 Depth=1
	s_delay_alu instid0(VALU_DEP_2) | instskip(NEXT) | instid1(VALU_DEP_1)
	v_dual_lshlrev_b32 v5, 16, v30 :: v_dual_lshlrev_b32 v34, 16, v32
	v_sub_f32_e32 v5, v5, v34
	s_delay_alu instid0(VALU_DEP_1) | instskip(SKIP_1) | instid1(VALU_DEP_1)
	v_fma_mix_f32_bf16 v34, s16, v5, v32 op_sel_hi:[0,0,1]
	v_fma_mix_f32_bf16 v5, -s12, v5, v30 op_sel_hi:[0,0,1]
	v_cndmask_b32_e64 v5, v5, v34, s0
	s_delay_alu instid0(VALU_DEP_1) | instskip(SKIP_1) | instid1(VALU_DEP_2)
	v_bfe_u32 v34, v5, 16, 1
	v_cmp_o_f32_e32 vcc_lo, v5, v5
	v_add3_u32 v34, v5, v34, 0x7fff
	s_delay_alu instid0(VALU_DEP_1) | instskip(SKIP_1) | instid1(VALU_DEP_2)
	v_lshrrev_b32_e32 v36, 16, v34
	v_add_nc_u64_e32 v[34:35], s[4:5], v[10:11]
	v_cndmask_b32_e32 v5, 0x7fc0, v36, vcc_lo
	global_store_b16 v[34:35], v5, off
	s_wait_xcnt 0x0
	s_or_b32 exec_lo, exec_lo, s13
	s_and_saveexec_b32 s13, s1
	s_cbranch_execz .LBB35_18
.LBB35_22:                              ;   in Loop: Header=BB35_9 Depth=1
	v_and_b32_e32 v5, 0xffff0000, v32
	v_and_b32_e32 v34, 0xffff0000, v30
	s_delay_alu instid0(VALU_DEP_1) | instskip(NEXT) | instid1(VALU_DEP_1)
	v_sub_f32_e32 v5, v34, v5
	v_fma_mix_f32_bf16 v34, s16, v5, v32 op_sel:[0,0,1] op_sel_hi:[0,0,1]
	v_fma_mix_f32_bf16 v5, -s12, v5, v30 op_sel:[0,0,1] op_sel_hi:[0,0,1]
	s_delay_alu instid0(VALU_DEP_1) | instskip(NEXT) | instid1(VALU_DEP_1)
	v_cndmask_b32_e64 v5, v5, v34, s0
	v_bfe_u32 v34, v5, 16, 1
	v_cmp_o_f32_e32 vcc_lo, v5, v5
	s_delay_alu instid0(VALU_DEP_2) | instskip(NEXT) | instid1(VALU_DEP_1)
	v_add3_u32 v34, v5, v34, 0x7fff
	v_lshrrev_b32_e32 v36, 16, v34
	v_add_nc_u64_e32 v[34:35], s[4:5], v[22:23]
	s_delay_alu instid0(VALU_DEP_2)
	v_cndmask_b32_e32 v5, 0x7fc0, v36, vcc_lo
	global_store_b16 v[34:35], v5, off
	s_wait_xcnt 0x0
	s_or_b32 exec_lo, exec_lo, s13
	s_and_saveexec_b32 s1, s2
	s_cbranch_execz .LBB35_19
.LBB35_23:                              ;   in Loop: Header=BB35_9 Depth=1
	v_alignbit_b32 v5, v33, v32, 16
	v_alignbit_b32 v30, v31, v30, 16
	s_delay_alu instid0(VALU_DEP_2) | instskip(NEXT) | instid1(VALU_DEP_2)
	v_and_b32_e32 v32, 0xffff0000, v5
	v_and_b32_e32 v34, 0xffff0000, v30
	s_delay_alu instid0(VALU_DEP_1) | instskip(SKIP_1) | instid1(VALU_DEP_2)
	v_sub_f32_e32 v32, v34, v32
	v_add_nc_u64_e32 v[34:35], s[4:5], v[24:25]
	v_fma_mix_f32_bf16 v5, s16, v32, v5 op_sel:[0,0,1] op_sel_hi:[0,0,1]
	v_fma_mix_f32_bf16 v30, -s12, v32, v30 op_sel:[0,0,1] op_sel_hi:[0,0,1]
	s_delay_alu instid0(VALU_DEP_1) | instskip(NEXT) | instid1(VALU_DEP_1)
	v_cndmask_b32_e64 v5, v30, v5, s0
	v_bfe_u32 v30, v5, 16, 1
	v_cmp_o_f32_e32 vcc_lo, v5, v5
	s_delay_alu instid0(VALU_DEP_2) | instskip(NEXT) | instid1(VALU_DEP_1)
	v_add3_u32 v30, v5, v30, 0x7fff
	v_lshrrev_b32_e32 v30, 16, v30
	s_delay_alu instid0(VALU_DEP_1)
	v_cndmask_b32_e32 v5, 0x7fc0, v30, vcc_lo
	global_store_b16 v[34:35], v5, off
	s_wait_xcnt 0x0
	s_or_b32 exec_lo, exec_lo, s1
	s_and_saveexec_b32 s1, s3
	s_cbranch_execz .LBB35_8
.LBB35_24:                              ;   in Loop: Header=BB35_9 Depth=1
	v_and_b32_e32 v5, 0xffff0000, v33
	v_and_b32_e32 v30, 0xffff0000, v31
	s_delay_alu instid0(VALU_DEP_1) | instskip(NEXT) | instid1(VALU_DEP_1)
	v_sub_f32_e32 v5, v30, v5
	v_fma_mix_f32_bf16 v30, s16, v5, v33 op_sel:[0,0,1] op_sel_hi:[0,0,1]
	v_fma_mix_f32_bf16 v5, -s12, v5, v31 op_sel:[0,0,1] op_sel_hi:[0,0,1]
	s_delay_alu instid0(VALU_DEP_1) | instskip(NEXT) | instid1(VALU_DEP_1)
	v_cndmask_b32_e64 v5, v5, v30, s0
	v_bfe_u32 v30, v5, 16, 1
	v_cmp_o_f32_e32 vcc_lo, v5, v5
	s_delay_alu instid0(VALU_DEP_2) | instskip(NEXT) | instid1(VALU_DEP_1)
	v_add3_u32 v30, v5, v30, 0x7fff
	v_lshrrev_b32_e32 v32, 16, v30
	v_add_nc_u64_e32 v[30:31], s[4:5], v[18:19]
	s_delay_alu instid0(VALU_DEP_2)
	v_cndmask_b32_e32 v5, 0x7fc0, v32, vcc_lo
	global_store_b16 v[30:31], v5, off
	s_branch .LBB35_8
.LBB35_25:
	s_endpgm
	.section	.rodata,"a",@progbits
	.p2align	6, 0x0
	.amdhsa_kernel _ZN2at6native12_GLOBAL__N_125multi_tensor_apply_kernelINS1_28TensorListScalarListMetadataIfLi2EEENS1_26TernaryOpScalarListFunctorIN3c108BFloat16ELi2ELi2ELi0EEEJNS0_11LerpFunctorIfEEEEEvT_T0_DpT1_
		.amdhsa_group_segment_fixed_size 0
		.amdhsa_private_segment_fixed_size 0
		.amdhsa_kernarg_size 3656
		.amdhsa_user_sgpr_count 2
		.amdhsa_user_sgpr_dispatch_ptr 0
		.amdhsa_user_sgpr_queue_ptr 0
		.amdhsa_user_sgpr_kernarg_segment_ptr 1
		.amdhsa_user_sgpr_dispatch_id 0
		.amdhsa_user_sgpr_kernarg_preload_length 0
		.amdhsa_user_sgpr_kernarg_preload_offset 0
		.amdhsa_user_sgpr_private_segment_size 0
		.amdhsa_wavefront_size32 1
		.amdhsa_uses_dynamic_stack 0
		.amdhsa_enable_private_segment 0
		.amdhsa_system_sgpr_workgroup_id_x 1
		.amdhsa_system_sgpr_workgroup_id_y 0
		.amdhsa_system_sgpr_workgroup_id_z 0
		.amdhsa_system_sgpr_workgroup_info 0
		.amdhsa_system_vgpr_workitem_id 0
		.amdhsa_next_free_vgpr 39
		.amdhsa_next_free_sgpr 20
		.amdhsa_named_barrier_count 0
		.amdhsa_reserve_vcc 1
		.amdhsa_float_round_mode_32 0
		.amdhsa_float_round_mode_16_64 0
		.amdhsa_float_denorm_mode_32 3
		.amdhsa_float_denorm_mode_16_64 3
		.amdhsa_fp16_overflow 0
		.amdhsa_memory_ordered 1
		.amdhsa_forward_progress 1
		.amdhsa_inst_pref_size 17
		.amdhsa_round_robin_scheduling 0
		.amdhsa_exception_fp_ieee_invalid_op 0
		.amdhsa_exception_fp_denorm_src 0
		.amdhsa_exception_fp_ieee_div_zero 0
		.amdhsa_exception_fp_ieee_overflow 0
		.amdhsa_exception_fp_ieee_underflow 0
		.amdhsa_exception_fp_ieee_inexact 0
		.amdhsa_exception_int_div_zero 0
	.end_amdhsa_kernel
	.section	.text._ZN2at6native12_GLOBAL__N_125multi_tensor_apply_kernelINS1_28TensorListScalarListMetadataIfLi2EEENS1_26TernaryOpScalarListFunctorIN3c108BFloat16ELi2ELi2ELi0EEEJNS0_11LerpFunctorIfEEEEEvT_T0_DpT1_,"axG",@progbits,_ZN2at6native12_GLOBAL__N_125multi_tensor_apply_kernelINS1_28TensorListScalarListMetadataIfLi2EEENS1_26TernaryOpScalarListFunctorIN3c108BFloat16ELi2ELi2ELi0EEEJNS0_11LerpFunctorIfEEEEEvT_T0_DpT1_,comdat
.Lfunc_end35:
	.size	_ZN2at6native12_GLOBAL__N_125multi_tensor_apply_kernelINS1_28TensorListScalarListMetadataIfLi2EEENS1_26TernaryOpScalarListFunctorIN3c108BFloat16ELi2ELi2ELi0EEEJNS0_11LerpFunctorIfEEEEEvT_T0_DpT1_, .Lfunc_end35-_ZN2at6native12_GLOBAL__N_125multi_tensor_apply_kernelINS1_28TensorListScalarListMetadataIfLi2EEENS1_26TernaryOpScalarListFunctorIN3c108BFloat16ELi2ELi2ELi0EEEJNS0_11LerpFunctorIfEEEEEvT_T0_DpT1_
                                        ; -- End function
	.set _ZN2at6native12_GLOBAL__N_125multi_tensor_apply_kernelINS1_28TensorListScalarListMetadataIfLi2EEENS1_26TernaryOpScalarListFunctorIN3c108BFloat16ELi2ELi2ELi0EEEJNS0_11LerpFunctorIfEEEEEvT_T0_DpT1_.num_vgpr, 39
	.set _ZN2at6native12_GLOBAL__N_125multi_tensor_apply_kernelINS1_28TensorListScalarListMetadataIfLi2EEENS1_26TernaryOpScalarListFunctorIN3c108BFloat16ELi2ELi2ELi0EEEJNS0_11LerpFunctorIfEEEEEvT_T0_DpT1_.num_agpr, 0
	.set _ZN2at6native12_GLOBAL__N_125multi_tensor_apply_kernelINS1_28TensorListScalarListMetadataIfLi2EEENS1_26TernaryOpScalarListFunctorIN3c108BFloat16ELi2ELi2ELi0EEEJNS0_11LerpFunctorIfEEEEEvT_T0_DpT1_.numbered_sgpr, 20
	.set _ZN2at6native12_GLOBAL__N_125multi_tensor_apply_kernelINS1_28TensorListScalarListMetadataIfLi2EEENS1_26TernaryOpScalarListFunctorIN3c108BFloat16ELi2ELi2ELi0EEEJNS0_11LerpFunctorIfEEEEEvT_T0_DpT1_.num_named_barrier, 0
	.set _ZN2at6native12_GLOBAL__N_125multi_tensor_apply_kernelINS1_28TensorListScalarListMetadataIfLi2EEENS1_26TernaryOpScalarListFunctorIN3c108BFloat16ELi2ELi2ELi0EEEJNS0_11LerpFunctorIfEEEEEvT_T0_DpT1_.private_seg_size, 0
	.set _ZN2at6native12_GLOBAL__N_125multi_tensor_apply_kernelINS1_28TensorListScalarListMetadataIfLi2EEENS1_26TernaryOpScalarListFunctorIN3c108BFloat16ELi2ELi2ELi0EEEJNS0_11LerpFunctorIfEEEEEvT_T0_DpT1_.uses_vcc, 1
	.set _ZN2at6native12_GLOBAL__N_125multi_tensor_apply_kernelINS1_28TensorListScalarListMetadataIfLi2EEENS1_26TernaryOpScalarListFunctorIN3c108BFloat16ELi2ELi2ELi0EEEJNS0_11LerpFunctorIfEEEEEvT_T0_DpT1_.uses_flat_scratch, 0
	.set _ZN2at6native12_GLOBAL__N_125multi_tensor_apply_kernelINS1_28TensorListScalarListMetadataIfLi2EEENS1_26TernaryOpScalarListFunctorIN3c108BFloat16ELi2ELi2ELi0EEEJNS0_11LerpFunctorIfEEEEEvT_T0_DpT1_.has_dyn_sized_stack, 0
	.set _ZN2at6native12_GLOBAL__N_125multi_tensor_apply_kernelINS1_28TensorListScalarListMetadataIfLi2EEENS1_26TernaryOpScalarListFunctorIN3c108BFloat16ELi2ELi2ELi0EEEJNS0_11LerpFunctorIfEEEEEvT_T0_DpT1_.has_recursion, 0
	.set _ZN2at6native12_GLOBAL__N_125multi_tensor_apply_kernelINS1_28TensorListScalarListMetadataIfLi2EEENS1_26TernaryOpScalarListFunctorIN3c108BFloat16ELi2ELi2ELi0EEEJNS0_11LerpFunctorIfEEEEEvT_T0_DpT1_.has_indirect_call, 0
	.section	.AMDGPU.csdata,"",@progbits
; Kernel info:
; codeLenInByte = 2100
; TotalNumSgprs: 22
; NumVgprs: 39
; ScratchSize: 0
; MemoryBound: 0
; FloatMode: 240
; IeeeMode: 1
; LDSByteSize: 0 bytes/workgroup (compile time only)
; SGPRBlocks: 0
; VGPRBlocks: 2
; NumSGPRsForWavesPerEU: 22
; NumVGPRsForWavesPerEU: 39
; NamedBarCnt: 0
; Occupancy: 16
; WaveLimiterHint : 0
; COMPUTE_PGM_RSRC2:SCRATCH_EN: 0
; COMPUTE_PGM_RSRC2:USER_SGPR: 2
; COMPUTE_PGM_RSRC2:TRAP_HANDLER: 0
; COMPUTE_PGM_RSRC2:TGID_X_EN: 1
; COMPUTE_PGM_RSRC2:TGID_Y_EN: 0
; COMPUTE_PGM_RSRC2:TGID_Z_EN: 0
; COMPUTE_PGM_RSRC2:TIDIG_COMP_CNT: 0
	.section	.AMDGPU.gpr_maximums,"",@progbits
	.set amdgpu.max_num_vgpr, 0
	.set amdgpu.max_num_agpr, 0
	.set amdgpu.max_num_sgpr, 0
	.section	.AMDGPU.csdata,"",@progbits
	.type	__hip_cuid_4d6f205ae41f4e57,@object ; @__hip_cuid_4d6f205ae41f4e57
	.section	.bss,"aw",@nobits
	.globl	__hip_cuid_4d6f205ae41f4e57
__hip_cuid_4d6f205ae41f4e57:
	.byte	0                               ; 0x0
	.size	__hip_cuid_4d6f205ae41f4e57, 1

	.ident	"AMD clang version 22.0.0git (https://github.com/RadeonOpenCompute/llvm-project roc-7.2.4 26084 f58b06dce1f9c15707c5f808fd002e18c2accf7e)"
	.section	".note.GNU-stack","",@progbits
	.addrsig
	.addrsig_sym __hip_cuid_4d6f205ae41f4e57
	.amdgpu_metadata
---
amdhsa.kernels:
  - .args:
      - .offset:         0
        .size:           3048
        .value_kind:     by_value
      - .offset:         3048
        .size:           1
        .value_kind:     by_value
      - .offset:         3049
        .size:           1
        .value_kind:     by_value
      - .offset:         3056
        .size:           4
        .value_kind:     hidden_block_count_x
      - .offset:         3060
        .size:           4
        .value_kind:     hidden_block_count_y
      - .offset:         3064
        .size:           4
        .value_kind:     hidden_block_count_z
      - .offset:         3068
        .size:           2
        .value_kind:     hidden_group_size_x
      - .offset:         3070
        .size:           2
        .value_kind:     hidden_group_size_y
      - .offset:         3072
        .size:           2
        .value_kind:     hidden_group_size_z
      - .offset:         3074
        .size:           2
        .value_kind:     hidden_remainder_x
      - .offset:         3076
        .size:           2
        .value_kind:     hidden_remainder_y
      - .offset:         3078
        .size:           2
        .value_kind:     hidden_remainder_z
      - .offset:         3096
        .size:           8
        .value_kind:     hidden_global_offset_x
      - .offset:         3104
        .size:           8
        .value_kind:     hidden_global_offset_y
      - .offset:         3112
        .size:           8
        .value_kind:     hidden_global_offset_z
      - .offset:         3120
        .size:           2
        .value_kind:     hidden_grid_dims
    .group_segment_fixed_size: 0
    .kernarg_segment_align: 8
    .kernarg_segment_size: 3312
    .language:       OpenCL C
    .language_version:
      - 2
      - 0
    .max_flat_workgroup_size: 512
    .name:           _ZN2at6native12_GLOBAL__N_125multi_tensor_apply_kernelINS1_18TensorListMetadataILi4EEENS1_20TernaryOpListFunctorIdLi4ELi3ELi3EEEJNS0_11LerpFunctorIdEEEEEvT_T0_DpT1_
    .private_segment_fixed_size: 0
    .sgpr_count:     32
    .sgpr_spill_count: 0
    .symbol:         _ZN2at6native12_GLOBAL__N_125multi_tensor_apply_kernelINS1_18TensorListMetadataILi4EEENS1_20TernaryOpListFunctorIdLi4ELi3ELi3EEEJNS0_11LerpFunctorIdEEEEEvT_T0_DpT1_.kd
    .uniform_work_group_size: 1
    .uses_dynamic_stack: false
    .vgpr_count:     72
    .vgpr_spill_count: 0
    .wavefront_size: 32
  - .args:
      - .offset:         0
        .size:           3048
        .value_kind:     by_value
      - .offset:         3048
        .size:           1
        .value_kind:     by_value
      - .offset:         3049
        .size:           1
        .value_kind:     by_value
      - .offset:         3056
        .size:           4
        .value_kind:     hidden_block_count_x
      - .offset:         3060
        .size:           4
        .value_kind:     hidden_block_count_y
      - .offset:         3064
        .size:           4
        .value_kind:     hidden_block_count_z
      - .offset:         3068
        .size:           2
        .value_kind:     hidden_group_size_x
      - .offset:         3070
        .size:           2
        .value_kind:     hidden_group_size_y
      - .offset:         3072
        .size:           2
        .value_kind:     hidden_group_size_z
      - .offset:         3074
        .size:           2
        .value_kind:     hidden_remainder_x
      - .offset:         3076
        .size:           2
        .value_kind:     hidden_remainder_y
      - .offset:         3078
        .size:           2
        .value_kind:     hidden_remainder_z
      - .offset:         3096
        .size:           8
        .value_kind:     hidden_global_offset_x
      - .offset:         3104
        .size:           8
        .value_kind:     hidden_global_offset_y
      - .offset:         3112
        .size:           8
        .value_kind:     hidden_global_offset_z
      - .offset:         3120
        .size:           2
        .value_kind:     hidden_grid_dims
    .group_segment_fixed_size: 0
    .kernarg_segment_align: 8
    .kernarg_segment_size: 3312
    .language:       OpenCL C
    .language_version:
      - 2
      - 0
    .max_flat_workgroup_size: 512
    .name:           _ZN2at6native12_GLOBAL__N_125multi_tensor_apply_kernelINS1_18TensorListMetadataILi4EEENS1_20TernaryOpListFunctorIfLi4ELi3ELi3EEEJNS0_11LerpFunctorIfEEEEEvT_T0_DpT1_
    .private_segment_fixed_size: 0
    .sgpr_count:     30
    .sgpr_spill_count: 0
    .symbol:         _ZN2at6native12_GLOBAL__N_125multi_tensor_apply_kernelINS1_18TensorListMetadataILi4EEENS1_20TernaryOpListFunctorIfLi4ELi3ELi3EEEJNS0_11LerpFunctorIfEEEEEvT_T0_DpT1_.kd
    .uniform_work_group_size: 1
    .uses_dynamic_stack: false
    .vgpr_count:     60
    .vgpr_spill_count: 0
    .wavefront_size: 32
  - .args:
      - .offset:         0
        .size:           3048
        .value_kind:     by_value
      - .offset:         3048
        .size:           1
        .value_kind:     by_value
      - .offset:         3049
        .size:           1
        .value_kind:     by_value
      - .offset:         3056
        .size:           4
        .value_kind:     hidden_block_count_x
      - .offset:         3060
        .size:           4
        .value_kind:     hidden_block_count_y
      - .offset:         3064
        .size:           4
        .value_kind:     hidden_block_count_z
      - .offset:         3068
        .size:           2
        .value_kind:     hidden_group_size_x
      - .offset:         3070
        .size:           2
        .value_kind:     hidden_group_size_y
      - .offset:         3072
        .size:           2
        .value_kind:     hidden_group_size_z
      - .offset:         3074
        .size:           2
        .value_kind:     hidden_remainder_x
      - .offset:         3076
        .size:           2
        .value_kind:     hidden_remainder_y
      - .offset:         3078
        .size:           2
        .value_kind:     hidden_remainder_z
      - .offset:         3096
        .size:           8
        .value_kind:     hidden_global_offset_x
      - .offset:         3104
        .size:           8
        .value_kind:     hidden_global_offset_y
      - .offset:         3112
        .size:           8
        .value_kind:     hidden_global_offset_z
      - .offset:         3120
        .size:           2
        .value_kind:     hidden_grid_dims
    .group_segment_fixed_size: 0
    .kernarg_segment_align: 8
    .kernarg_segment_size: 3312
    .language:       OpenCL C
    .language_version:
      - 2
      - 0
    .max_flat_workgroup_size: 512
    .name:           _ZN2at6native12_GLOBAL__N_125multi_tensor_apply_kernelINS1_18TensorListMetadataILi4EEENS1_20TernaryOpListFunctorIN3c107complexIdEELi4ELi3ELi3EEEJNS0_11LerpFunctorIS8_EEEEEvT_T0_DpT1_
    .private_segment_fixed_size: 0
    .sgpr_count:     29
    .sgpr_spill_count: 0
    .symbol:         _ZN2at6native12_GLOBAL__N_125multi_tensor_apply_kernelINS1_18TensorListMetadataILi4EEENS1_20TernaryOpListFunctorIN3c107complexIdEELi4ELi3ELi3EEEJNS0_11LerpFunctorIS8_EEEEEvT_T0_DpT1_.kd
    .uniform_work_group_size: 1
    .uses_dynamic_stack: false
    .vgpr_count:     70
    .vgpr_spill_count: 0
    .wavefront_size: 32
  - .args:
      - .offset:         0
        .size:           3048
        .value_kind:     by_value
      - .offset:         3048
        .size:           1
        .value_kind:     by_value
      - .offset:         3049
        .size:           1
        .value_kind:     by_value
      - .offset:         3056
        .size:           4
        .value_kind:     hidden_block_count_x
      - .offset:         3060
        .size:           4
        .value_kind:     hidden_block_count_y
      - .offset:         3064
        .size:           4
        .value_kind:     hidden_block_count_z
      - .offset:         3068
        .size:           2
        .value_kind:     hidden_group_size_x
      - .offset:         3070
        .size:           2
        .value_kind:     hidden_group_size_y
      - .offset:         3072
        .size:           2
        .value_kind:     hidden_group_size_z
      - .offset:         3074
        .size:           2
        .value_kind:     hidden_remainder_x
      - .offset:         3076
        .size:           2
        .value_kind:     hidden_remainder_y
      - .offset:         3078
        .size:           2
        .value_kind:     hidden_remainder_z
      - .offset:         3096
        .size:           8
        .value_kind:     hidden_global_offset_x
      - .offset:         3104
        .size:           8
        .value_kind:     hidden_global_offset_y
      - .offset:         3112
        .size:           8
        .value_kind:     hidden_global_offset_z
      - .offset:         3120
        .size:           2
        .value_kind:     hidden_grid_dims
    .group_segment_fixed_size: 0
    .kernarg_segment_align: 8
    .kernarg_segment_size: 3312
    .language:       OpenCL C
    .language_version:
      - 2
      - 0
    .max_flat_workgroup_size: 512
    .name:           _ZN2at6native12_GLOBAL__N_125multi_tensor_apply_kernelINS1_18TensorListMetadataILi4EEENS1_20TernaryOpListFunctorIN3c107complexIfEELi4ELi3ELi3EEEJNS0_11LerpFunctorIS8_EEEEEvT_T0_DpT1_
    .private_segment_fixed_size: 0
    .sgpr_count:     32
    .sgpr_spill_count: 0
    .symbol:         _ZN2at6native12_GLOBAL__N_125multi_tensor_apply_kernelINS1_18TensorListMetadataILi4EEENS1_20TernaryOpListFunctorIN3c107complexIfEELi4ELi3ELi3EEEJNS0_11LerpFunctorIS8_EEEEEvT_T0_DpT1_.kd
    .uniform_work_group_size: 1
    .uses_dynamic_stack: false
    .vgpr_count:     72
    .vgpr_spill_count: 0
    .wavefront_size: 32
  - .args:
      - .offset:         0
        .size:           3048
        .value_kind:     by_value
      - .offset:         3048
        .size:           1
        .value_kind:     by_value
      - .offset:         3049
        .size:           1
        .value_kind:     by_value
      - .offset:         3056
        .size:           4
        .value_kind:     hidden_block_count_x
      - .offset:         3060
        .size:           4
        .value_kind:     hidden_block_count_y
      - .offset:         3064
        .size:           4
        .value_kind:     hidden_block_count_z
      - .offset:         3068
        .size:           2
        .value_kind:     hidden_group_size_x
      - .offset:         3070
        .size:           2
        .value_kind:     hidden_group_size_y
      - .offset:         3072
        .size:           2
        .value_kind:     hidden_group_size_z
      - .offset:         3074
        .size:           2
        .value_kind:     hidden_remainder_x
      - .offset:         3076
        .size:           2
        .value_kind:     hidden_remainder_y
      - .offset:         3078
        .size:           2
        .value_kind:     hidden_remainder_z
      - .offset:         3096
        .size:           8
        .value_kind:     hidden_global_offset_x
      - .offset:         3104
        .size:           8
        .value_kind:     hidden_global_offset_y
      - .offset:         3112
        .size:           8
        .value_kind:     hidden_global_offset_z
      - .offset:         3120
        .size:           2
        .value_kind:     hidden_grid_dims
    .group_segment_fixed_size: 0
    .kernarg_segment_align: 8
    .kernarg_segment_size: 3312
    .language:       OpenCL C
    .language_version:
      - 2
      - 0
    .max_flat_workgroup_size: 512
    .name:           _ZN2at6native12_GLOBAL__N_125multi_tensor_apply_kernelINS1_18TensorListMetadataILi4EEENS1_20TernaryOpListFunctorIN3c104HalfELi4ELi3ELi3EEEJNS0_11LerpFunctorIfEEEEEvT_T0_DpT1_
    .private_segment_fixed_size: 0
    .sgpr_count:     25
    .sgpr_spill_count: 0
    .symbol:         _ZN2at6native12_GLOBAL__N_125multi_tensor_apply_kernelINS1_18TensorListMetadataILi4EEENS1_20TernaryOpListFunctorIN3c104HalfELi4ELi3ELi3EEEJNS0_11LerpFunctorIfEEEEEvT_T0_DpT1_.kd
    .uniform_work_group_size: 1
    .uses_dynamic_stack: false
    .vgpr_count:     61
    .vgpr_spill_count: 0
    .wavefront_size: 32
  - .args:
      - .offset:         0
        .size:           3048
        .value_kind:     by_value
      - .offset:         3048
        .size:           1
        .value_kind:     by_value
      - .offset:         3049
        .size:           1
        .value_kind:     by_value
      - .offset:         3056
        .size:           4
        .value_kind:     hidden_block_count_x
      - .offset:         3060
        .size:           4
        .value_kind:     hidden_block_count_y
      - .offset:         3064
        .size:           4
        .value_kind:     hidden_block_count_z
      - .offset:         3068
        .size:           2
        .value_kind:     hidden_group_size_x
      - .offset:         3070
        .size:           2
        .value_kind:     hidden_group_size_y
      - .offset:         3072
        .size:           2
        .value_kind:     hidden_group_size_z
      - .offset:         3074
        .size:           2
        .value_kind:     hidden_remainder_x
      - .offset:         3076
        .size:           2
        .value_kind:     hidden_remainder_y
      - .offset:         3078
        .size:           2
        .value_kind:     hidden_remainder_z
      - .offset:         3096
        .size:           8
        .value_kind:     hidden_global_offset_x
      - .offset:         3104
        .size:           8
        .value_kind:     hidden_global_offset_y
      - .offset:         3112
        .size:           8
        .value_kind:     hidden_global_offset_z
      - .offset:         3120
        .size:           2
        .value_kind:     hidden_grid_dims
    .group_segment_fixed_size: 0
    .kernarg_segment_align: 8
    .kernarg_segment_size: 3312
    .language:       OpenCL C
    .language_version:
      - 2
      - 0
    .max_flat_workgroup_size: 512
    .name:           _ZN2at6native12_GLOBAL__N_125multi_tensor_apply_kernelINS1_18TensorListMetadataILi4EEENS1_20TernaryOpListFunctorIN3c108BFloat16ELi4ELi3ELi3EEEJNS0_11LerpFunctorIfEEEEEvT_T0_DpT1_
    .private_segment_fixed_size: 0
    .sgpr_count:     24
    .sgpr_spill_count: 0
    .symbol:         _ZN2at6native12_GLOBAL__N_125multi_tensor_apply_kernelINS1_18TensorListMetadataILi4EEENS1_20TernaryOpListFunctorIN3c108BFloat16ELi4ELi3ELi3EEEJNS0_11LerpFunctorIfEEEEEvT_T0_DpT1_.kd
    .uniform_work_group_size: 1
    .uses_dynamic_stack: false
    .vgpr_count:     58
    .vgpr_spill_count: 0
    .wavefront_size: 32
  - .args:
      - .offset:         0
        .size:           3144
        .value_kind:     by_value
      - .offset:         3144
        .size:           1
        .value_kind:     by_value
      - .offset:         3145
        .size:           1
        .value_kind:     by_value
      - .offset:         3152
        .size:           4
        .value_kind:     hidden_block_count_x
      - .offset:         3156
        .size:           4
        .value_kind:     hidden_block_count_y
      - .offset:         3160
        .size:           4
        .value_kind:     hidden_block_count_z
      - .offset:         3164
        .size:           2
        .value_kind:     hidden_group_size_x
      - .offset:         3166
        .size:           2
        .value_kind:     hidden_group_size_y
      - .offset:         3168
        .size:           2
        .value_kind:     hidden_group_size_z
      - .offset:         3170
        .size:           2
        .value_kind:     hidden_remainder_x
      - .offset:         3172
        .size:           2
        .value_kind:     hidden_remainder_y
      - .offset:         3174
        .size:           2
        .value_kind:     hidden_remainder_z
      - .offset:         3192
        .size:           8
        .value_kind:     hidden_global_offset_x
      - .offset:         3200
        .size:           8
        .value_kind:     hidden_global_offset_y
      - .offset:         3208
        .size:           8
        .value_kind:     hidden_global_offset_z
      - .offset:         3216
        .size:           2
        .value_kind:     hidden_grid_dims
    .group_segment_fixed_size: 0
    .kernarg_segment_align: 8
    .kernarg_segment_size: 3408
    .language:       OpenCL C
    .language_version:
      - 2
      - 0
    .max_flat_workgroup_size: 512
    .name:           _ZN2at6native12_GLOBAL__N_125multi_tensor_apply_kernelINS1_18TensorListMetadataILi3EEENS1_20TernaryOpListFunctorIdLi3ELi3ELi0EEEJNS0_11LerpFunctorIdEEEEEvT_T0_DpT1_
    .private_segment_fixed_size: 0
    .sgpr_count:     28
    .sgpr_spill_count: 0
    .symbol:         _ZN2at6native12_GLOBAL__N_125multi_tensor_apply_kernelINS1_18TensorListMetadataILi3EEENS1_20TernaryOpListFunctorIdLi3ELi3ELi0EEEJNS0_11LerpFunctorIdEEEEEvT_T0_DpT1_.kd
    .uniform_work_group_size: 1
    .uses_dynamic_stack: false
    .vgpr_count:     64
    .vgpr_spill_count: 0
    .wavefront_size: 32
  - .args:
      - .offset:         0
        .size:           3144
        .value_kind:     by_value
      - .offset:         3144
        .size:           1
        .value_kind:     by_value
      - .offset:         3145
        .size:           1
        .value_kind:     by_value
      - .offset:         3152
        .size:           4
        .value_kind:     hidden_block_count_x
      - .offset:         3156
        .size:           4
        .value_kind:     hidden_block_count_y
      - .offset:         3160
        .size:           4
        .value_kind:     hidden_block_count_z
      - .offset:         3164
        .size:           2
        .value_kind:     hidden_group_size_x
      - .offset:         3166
        .size:           2
        .value_kind:     hidden_group_size_y
      - .offset:         3168
        .size:           2
        .value_kind:     hidden_group_size_z
      - .offset:         3170
        .size:           2
        .value_kind:     hidden_remainder_x
      - .offset:         3172
        .size:           2
        .value_kind:     hidden_remainder_y
      - .offset:         3174
        .size:           2
        .value_kind:     hidden_remainder_z
      - .offset:         3192
        .size:           8
        .value_kind:     hidden_global_offset_x
      - .offset:         3200
        .size:           8
        .value_kind:     hidden_global_offset_y
      - .offset:         3208
        .size:           8
        .value_kind:     hidden_global_offset_z
      - .offset:         3216
        .size:           2
        .value_kind:     hidden_grid_dims
    .group_segment_fixed_size: 0
    .kernarg_segment_align: 8
    .kernarg_segment_size: 3408
    .language:       OpenCL C
    .language_version:
      - 2
      - 0
    .max_flat_workgroup_size: 512
    .name:           _ZN2at6native12_GLOBAL__N_125multi_tensor_apply_kernelINS1_18TensorListMetadataILi3EEENS1_20TernaryOpListFunctorIfLi3ELi3ELi0EEEJNS0_11LerpFunctorIfEEEEEvT_T0_DpT1_
    .private_segment_fixed_size: 0
    .sgpr_count:     28
    .sgpr_spill_count: 0
    .symbol:         _ZN2at6native12_GLOBAL__N_125multi_tensor_apply_kernelINS1_18TensorListMetadataILi3EEENS1_20TernaryOpListFunctorIfLi3ELi3ELi0EEEJNS0_11LerpFunctorIfEEEEEvT_T0_DpT1_.kd
    .uniform_work_group_size: 1
    .uses_dynamic_stack: false
    .vgpr_count:     52
    .vgpr_spill_count: 0
    .wavefront_size: 32
  - .args:
      - .offset:         0
        .size:           3144
        .value_kind:     by_value
      - .offset:         3144
        .size:           1
        .value_kind:     by_value
      - .offset:         3145
        .size:           1
        .value_kind:     by_value
      - .offset:         3152
        .size:           4
        .value_kind:     hidden_block_count_x
      - .offset:         3156
        .size:           4
        .value_kind:     hidden_block_count_y
      - .offset:         3160
        .size:           4
        .value_kind:     hidden_block_count_z
      - .offset:         3164
        .size:           2
        .value_kind:     hidden_group_size_x
      - .offset:         3166
        .size:           2
        .value_kind:     hidden_group_size_y
      - .offset:         3168
        .size:           2
        .value_kind:     hidden_group_size_z
      - .offset:         3170
        .size:           2
        .value_kind:     hidden_remainder_x
      - .offset:         3172
        .size:           2
        .value_kind:     hidden_remainder_y
      - .offset:         3174
        .size:           2
        .value_kind:     hidden_remainder_z
      - .offset:         3192
        .size:           8
        .value_kind:     hidden_global_offset_x
      - .offset:         3200
        .size:           8
        .value_kind:     hidden_global_offset_y
      - .offset:         3208
        .size:           8
        .value_kind:     hidden_global_offset_z
      - .offset:         3216
        .size:           2
        .value_kind:     hidden_grid_dims
    .group_segment_fixed_size: 0
    .kernarg_segment_align: 8
    .kernarg_segment_size: 3408
    .language:       OpenCL C
    .language_version:
      - 2
      - 0
    .max_flat_workgroup_size: 512
    .name:           _ZN2at6native12_GLOBAL__N_125multi_tensor_apply_kernelINS1_18TensorListMetadataILi3EEENS1_20TernaryOpListFunctorIN3c107complexIdEELi3ELi3ELi0EEEJNS0_11LerpFunctorIS8_EEEEEvT_T0_DpT1_
    .private_segment_fixed_size: 0
    .sgpr_count:     25
    .sgpr_spill_count: 0
    .symbol:         _ZN2at6native12_GLOBAL__N_125multi_tensor_apply_kernelINS1_18TensorListMetadataILi3EEENS1_20TernaryOpListFunctorIN3c107complexIdEELi3ELi3ELi0EEEJNS0_11LerpFunctorIS8_EEEEEvT_T0_DpT1_.kd
    .uniform_work_group_size: 1
    .uses_dynamic_stack: false
    .vgpr_count:     70
    .vgpr_spill_count: 0
    .wavefront_size: 32
  - .args:
      - .offset:         0
        .size:           3144
        .value_kind:     by_value
      - .offset:         3144
        .size:           1
        .value_kind:     by_value
      - .offset:         3145
        .size:           1
        .value_kind:     by_value
      - .offset:         3152
        .size:           4
        .value_kind:     hidden_block_count_x
      - .offset:         3156
        .size:           4
        .value_kind:     hidden_block_count_y
      - .offset:         3160
        .size:           4
        .value_kind:     hidden_block_count_z
      - .offset:         3164
        .size:           2
        .value_kind:     hidden_group_size_x
      - .offset:         3166
        .size:           2
        .value_kind:     hidden_group_size_y
      - .offset:         3168
        .size:           2
        .value_kind:     hidden_group_size_z
      - .offset:         3170
        .size:           2
        .value_kind:     hidden_remainder_x
      - .offset:         3172
        .size:           2
        .value_kind:     hidden_remainder_y
      - .offset:         3174
        .size:           2
        .value_kind:     hidden_remainder_z
      - .offset:         3192
        .size:           8
        .value_kind:     hidden_global_offset_x
      - .offset:         3200
        .size:           8
        .value_kind:     hidden_global_offset_y
      - .offset:         3208
        .size:           8
        .value_kind:     hidden_global_offset_z
      - .offset:         3216
        .size:           2
        .value_kind:     hidden_grid_dims
    .group_segment_fixed_size: 0
    .kernarg_segment_align: 8
    .kernarg_segment_size: 3408
    .language:       OpenCL C
    .language_version:
      - 2
      - 0
    .max_flat_workgroup_size: 512
    .name:           _ZN2at6native12_GLOBAL__N_125multi_tensor_apply_kernelINS1_18TensorListMetadataILi3EEENS1_20TernaryOpListFunctorIN3c107complexIfEELi3ELi3ELi0EEEJNS0_11LerpFunctorIS8_EEEEEvT_T0_DpT1_
    .private_segment_fixed_size: 0
    .sgpr_count:     27
    .sgpr_spill_count: 0
    .symbol:         _ZN2at6native12_GLOBAL__N_125multi_tensor_apply_kernelINS1_18TensorListMetadataILi3EEENS1_20TernaryOpListFunctorIN3c107complexIfEELi3ELi3ELi0EEEJNS0_11LerpFunctorIS8_EEEEEvT_T0_DpT1_.kd
    .uniform_work_group_size: 1
    .uses_dynamic_stack: false
    .vgpr_count:     64
    .vgpr_spill_count: 0
    .wavefront_size: 32
  - .args:
      - .offset:         0
        .size:           3144
        .value_kind:     by_value
      - .offset:         3144
        .size:           1
        .value_kind:     by_value
      - .offset:         3145
        .size:           1
        .value_kind:     by_value
      - .offset:         3152
        .size:           4
        .value_kind:     hidden_block_count_x
      - .offset:         3156
        .size:           4
        .value_kind:     hidden_block_count_y
      - .offset:         3160
        .size:           4
        .value_kind:     hidden_block_count_z
      - .offset:         3164
        .size:           2
        .value_kind:     hidden_group_size_x
      - .offset:         3166
        .size:           2
        .value_kind:     hidden_group_size_y
      - .offset:         3168
        .size:           2
        .value_kind:     hidden_group_size_z
      - .offset:         3170
        .size:           2
        .value_kind:     hidden_remainder_x
      - .offset:         3172
        .size:           2
        .value_kind:     hidden_remainder_y
      - .offset:         3174
        .size:           2
        .value_kind:     hidden_remainder_z
      - .offset:         3192
        .size:           8
        .value_kind:     hidden_global_offset_x
      - .offset:         3200
        .size:           8
        .value_kind:     hidden_global_offset_y
      - .offset:         3208
        .size:           8
        .value_kind:     hidden_global_offset_z
      - .offset:         3216
        .size:           2
        .value_kind:     hidden_grid_dims
    .group_segment_fixed_size: 0
    .kernarg_segment_align: 8
    .kernarg_segment_size: 3408
    .language:       OpenCL C
    .language_version:
      - 2
      - 0
    .max_flat_workgroup_size: 512
    .name:           _ZN2at6native12_GLOBAL__N_125multi_tensor_apply_kernelINS1_18TensorListMetadataILi3EEENS1_20TernaryOpListFunctorIN3c104HalfELi3ELi3ELi0EEEJNS0_11LerpFunctorIfEEEEEvT_T0_DpT1_
    .private_segment_fixed_size: 0
    .sgpr_count:     23
    .sgpr_spill_count: 0
    .symbol:         _ZN2at6native12_GLOBAL__N_125multi_tensor_apply_kernelINS1_18TensorListMetadataILi3EEENS1_20TernaryOpListFunctorIN3c104HalfELi3ELi3ELi0EEEJNS0_11LerpFunctorIfEEEEEvT_T0_DpT1_.kd
    .uniform_work_group_size: 1
    .uses_dynamic_stack: false
    .vgpr_count:     53
    .vgpr_spill_count: 0
    .wavefront_size: 32
  - .args:
      - .offset:         0
        .size:           3144
        .value_kind:     by_value
      - .offset:         3144
        .size:           1
        .value_kind:     by_value
      - .offset:         3145
        .size:           1
        .value_kind:     by_value
      - .offset:         3152
        .size:           4
        .value_kind:     hidden_block_count_x
      - .offset:         3156
        .size:           4
        .value_kind:     hidden_block_count_y
      - .offset:         3160
        .size:           4
        .value_kind:     hidden_block_count_z
      - .offset:         3164
        .size:           2
        .value_kind:     hidden_group_size_x
      - .offset:         3166
        .size:           2
        .value_kind:     hidden_group_size_y
      - .offset:         3168
        .size:           2
        .value_kind:     hidden_group_size_z
      - .offset:         3170
        .size:           2
        .value_kind:     hidden_remainder_x
      - .offset:         3172
        .size:           2
        .value_kind:     hidden_remainder_y
      - .offset:         3174
        .size:           2
        .value_kind:     hidden_remainder_z
      - .offset:         3192
        .size:           8
        .value_kind:     hidden_global_offset_x
      - .offset:         3200
        .size:           8
        .value_kind:     hidden_global_offset_y
      - .offset:         3208
        .size:           8
        .value_kind:     hidden_global_offset_z
      - .offset:         3216
        .size:           2
        .value_kind:     hidden_grid_dims
    .group_segment_fixed_size: 0
    .kernarg_segment_align: 8
    .kernarg_segment_size: 3408
    .language:       OpenCL C
    .language_version:
      - 2
      - 0
    .max_flat_workgroup_size: 512
    .name:           _ZN2at6native12_GLOBAL__N_125multi_tensor_apply_kernelINS1_18TensorListMetadataILi3EEENS1_20TernaryOpListFunctorIN3c108BFloat16ELi3ELi3ELi0EEEJNS0_11LerpFunctorIfEEEEEvT_T0_DpT1_
    .private_segment_fixed_size: 0
    .sgpr_count:     22
    .sgpr_spill_count: 0
    .symbol:         _ZN2at6native12_GLOBAL__N_125multi_tensor_apply_kernelINS1_18TensorListMetadataILi3EEENS1_20TernaryOpListFunctorIN3c108BFloat16ELi3ELi3ELi0EEEJNS0_11LerpFunctorIfEEEEEvT_T0_DpT1_.kd
    .uniform_work_group_size: 1
    .uses_dynamic_stack: false
    .vgpr_count:     50
    .vgpr_spill_count: 0
    .wavefront_size: 32
  - .args:
      - .offset:         0
        .size:           3144
        .value_kind:     by_value
      - .offset:         3144
        .size:           1
        .value_kind:     by_value
      - .offset:         3145
        .size:           1
        .value_kind:     by_value
      - .offset:         3152
        .size:           8
        .value_kind:     by_value
      - .offset:         3160
        .size:           4
        .value_kind:     hidden_block_count_x
      - .offset:         3164
        .size:           4
        .value_kind:     hidden_block_count_y
      - .offset:         3168
        .size:           4
        .value_kind:     hidden_block_count_z
      - .offset:         3172
        .size:           2
        .value_kind:     hidden_group_size_x
      - .offset:         3174
        .size:           2
        .value_kind:     hidden_group_size_y
      - .offset:         3176
        .size:           2
        .value_kind:     hidden_group_size_z
      - .offset:         3178
        .size:           2
        .value_kind:     hidden_remainder_x
      - .offset:         3180
        .size:           2
        .value_kind:     hidden_remainder_y
      - .offset:         3182
        .size:           2
        .value_kind:     hidden_remainder_z
      - .offset:         3200
        .size:           8
        .value_kind:     hidden_global_offset_x
      - .offset:         3208
        .size:           8
        .value_kind:     hidden_global_offset_y
      - .offset:         3216
        .size:           8
        .value_kind:     hidden_global_offset_z
      - .offset:         3224
        .size:           2
        .value_kind:     hidden_grid_dims
    .group_segment_fixed_size: 0
    .kernarg_segment_align: 8
    .kernarg_segment_size: 3416
    .language:       OpenCL C
    .language_version:
      - 2
      - 0
    .max_flat_workgroup_size: 512
    .name:           _ZN2at6native12_GLOBAL__N_125multi_tensor_apply_kernelINS1_18TensorListMetadataILi3EEENS1_22TernaryOpScalarFunctorIdLi3ELi2ELi2EEEJNS0_11LerpFunctorIdEEdEEEvT_T0_DpT1_
    .private_segment_fixed_size: 0
    .sgpr_count:     30
    .sgpr_spill_count: 0
    .symbol:         _ZN2at6native12_GLOBAL__N_125multi_tensor_apply_kernelINS1_18TensorListMetadataILi3EEENS1_22TernaryOpScalarFunctorIdLi3ELi2ELi2EEEJNS0_11LerpFunctorIdEEdEEEvT_T0_DpT1_.kd
    .uniform_work_group_size: 1
    .uses_dynamic_stack: false
    .vgpr_count:     58
    .vgpr_spill_count: 0
    .wavefront_size: 32
  - .args:
      - .offset:         0
        .size:           3144
        .value_kind:     by_value
      - .offset:         3144
        .size:           1
        .value_kind:     by_value
      - .offset:         3145
        .size:           1
        .value_kind:     by_value
      - .offset:         3148
        .size:           4
        .value_kind:     by_value
      - .offset:         3152
        .size:           4
        .value_kind:     hidden_block_count_x
      - .offset:         3156
        .size:           4
        .value_kind:     hidden_block_count_y
      - .offset:         3160
        .size:           4
        .value_kind:     hidden_block_count_z
      - .offset:         3164
        .size:           2
        .value_kind:     hidden_group_size_x
      - .offset:         3166
        .size:           2
        .value_kind:     hidden_group_size_y
      - .offset:         3168
        .size:           2
        .value_kind:     hidden_group_size_z
      - .offset:         3170
        .size:           2
        .value_kind:     hidden_remainder_x
      - .offset:         3172
        .size:           2
        .value_kind:     hidden_remainder_y
      - .offset:         3174
        .size:           2
        .value_kind:     hidden_remainder_z
      - .offset:         3192
        .size:           8
        .value_kind:     hidden_global_offset_x
      - .offset:         3200
        .size:           8
        .value_kind:     hidden_global_offset_y
      - .offset:         3208
        .size:           8
        .value_kind:     hidden_global_offset_z
      - .offset:         3216
        .size:           2
        .value_kind:     hidden_grid_dims
    .group_segment_fixed_size: 0
    .kernarg_segment_align: 8
    .kernarg_segment_size: 3408
    .language:       OpenCL C
    .language_version:
      - 2
      - 0
    .max_flat_workgroup_size: 512
    .name:           _ZN2at6native12_GLOBAL__N_125multi_tensor_apply_kernelINS1_18TensorListMetadataILi3EEENS1_22TernaryOpScalarFunctorIfLi3ELi2ELi2EEEJNS0_11LerpFunctorIfEEfEEEvT_T0_DpT1_
    .private_segment_fixed_size: 0
    .sgpr_count:     26
    .sgpr_spill_count: 0
    .symbol:         _ZN2at6native12_GLOBAL__N_125multi_tensor_apply_kernelINS1_18TensorListMetadataILi3EEENS1_22TernaryOpScalarFunctorIfLi3ELi2ELi2EEEJNS0_11LerpFunctorIfEEfEEEvT_T0_DpT1_.kd
    .uniform_work_group_size: 1
    .uses_dynamic_stack: false
    .vgpr_count:     48
    .vgpr_spill_count: 0
    .wavefront_size: 32
  - .args:
      - .offset:         0
        .size:           3144
        .value_kind:     by_value
      - .offset:         3144
        .size:           1
        .value_kind:     by_value
      - .offset:         3145
        .size:           1
        .value_kind:     by_value
      - .offset:         3152
        .size:           16
        .value_kind:     by_value
      - .offset:         3168
        .size:           4
        .value_kind:     hidden_block_count_x
      - .offset:         3172
        .size:           4
        .value_kind:     hidden_block_count_y
      - .offset:         3176
        .size:           4
        .value_kind:     hidden_block_count_z
      - .offset:         3180
        .size:           2
        .value_kind:     hidden_group_size_x
      - .offset:         3182
        .size:           2
        .value_kind:     hidden_group_size_y
      - .offset:         3184
        .size:           2
        .value_kind:     hidden_group_size_z
      - .offset:         3186
        .size:           2
        .value_kind:     hidden_remainder_x
      - .offset:         3188
        .size:           2
        .value_kind:     hidden_remainder_y
      - .offset:         3190
        .size:           2
        .value_kind:     hidden_remainder_z
      - .offset:         3208
        .size:           8
        .value_kind:     hidden_global_offset_x
      - .offset:         3216
        .size:           8
        .value_kind:     hidden_global_offset_y
      - .offset:         3224
        .size:           8
        .value_kind:     hidden_global_offset_z
      - .offset:         3232
        .size:           2
        .value_kind:     hidden_grid_dims
    .group_segment_fixed_size: 0
    .kernarg_segment_align: 16
    .kernarg_segment_size: 3424
    .language:       OpenCL C
    .language_version:
      - 2
      - 0
    .max_flat_workgroup_size: 512
    .name:           _ZN2at6native12_GLOBAL__N_125multi_tensor_apply_kernelINS1_18TensorListMetadataILi3EEENS1_22TernaryOpScalarFunctorIN3c107complexIdEELi3ELi2ELi2EEEJNS0_11LerpFunctorIS8_EES8_EEEvT_T0_DpT1_
    .private_segment_fixed_size: 0
    .sgpr_count:     30
    .sgpr_spill_count: 0
    .symbol:         _ZN2at6native12_GLOBAL__N_125multi_tensor_apply_kernelINS1_18TensorListMetadataILi3EEENS1_22TernaryOpScalarFunctorIN3c107complexIdEELi3ELi2ELi2EEEJNS0_11LerpFunctorIS8_EES8_EEEvT_T0_DpT1_.kd
    .uniform_work_group_size: 1
    .uses_dynamic_stack: false
    .vgpr_count:     58
    .vgpr_spill_count: 0
    .wavefront_size: 32
  - .args:
      - .offset:         0
        .size:           3144
        .value_kind:     by_value
      - .offset:         3144
        .size:           1
        .value_kind:     by_value
      - .offset:         3145
        .size:           1
        .value_kind:     by_value
      - .offset:         3152
        .size:           8
        .value_kind:     by_value
      - .offset:         3160
        .size:           4
        .value_kind:     hidden_block_count_x
      - .offset:         3164
        .size:           4
        .value_kind:     hidden_block_count_y
      - .offset:         3168
        .size:           4
        .value_kind:     hidden_block_count_z
      - .offset:         3172
        .size:           2
        .value_kind:     hidden_group_size_x
      - .offset:         3174
        .size:           2
        .value_kind:     hidden_group_size_y
      - .offset:         3176
        .size:           2
        .value_kind:     hidden_group_size_z
      - .offset:         3178
        .size:           2
        .value_kind:     hidden_remainder_x
      - .offset:         3180
        .size:           2
        .value_kind:     hidden_remainder_y
      - .offset:         3182
        .size:           2
        .value_kind:     hidden_remainder_z
      - .offset:         3200
        .size:           8
        .value_kind:     hidden_global_offset_x
      - .offset:         3208
        .size:           8
        .value_kind:     hidden_global_offset_y
      - .offset:         3216
        .size:           8
        .value_kind:     hidden_global_offset_z
      - .offset:         3224
        .size:           2
        .value_kind:     hidden_grid_dims
    .group_segment_fixed_size: 0
    .kernarg_segment_align: 8
    .kernarg_segment_size: 3416
    .language:       OpenCL C
    .language_version:
      - 2
      - 0
    .max_flat_workgroup_size: 512
    .name:           _ZN2at6native12_GLOBAL__N_125multi_tensor_apply_kernelINS1_18TensorListMetadataILi3EEENS1_22TernaryOpScalarFunctorIN3c107complexIfEELi3ELi2ELi2EEEJNS0_11LerpFunctorIS8_EES8_EEEvT_T0_DpT1_
    .private_segment_fixed_size: 0
    .sgpr_count:     32
    .sgpr_spill_count: 0
    .symbol:         _ZN2at6native12_GLOBAL__N_125multi_tensor_apply_kernelINS1_18TensorListMetadataILi3EEENS1_22TernaryOpScalarFunctorIN3c107complexIfEELi3ELi2ELi2EEEJNS0_11LerpFunctorIS8_EES8_EEEvT_T0_DpT1_.kd
    .uniform_work_group_size: 1
    .uses_dynamic_stack: false
    .vgpr_count:     60
    .vgpr_spill_count: 0
    .wavefront_size: 32
  - .args:
      - .offset:         0
        .size:           3144
        .value_kind:     by_value
      - .offset:         3144
        .size:           1
        .value_kind:     by_value
      - .offset:         3145
        .size:           1
        .value_kind:     by_value
      - .offset:         3148
        .size:           4
        .value_kind:     by_value
      - .offset:         3152
        .size:           4
        .value_kind:     hidden_block_count_x
      - .offset:         3156
        .size:           4
        .value_kind:     hidden_block_count_y
      - .offset:         3160
        .size:           4
        .value_kind:     hidden_block_count_z
      - .offset:         3164
        .size:           2
        .value_kind:     hidden_group_size_x
      - .offset:         3166
        .size:           2
        .value_kind:     hidden_group_size_y
      - .offset:         3168
        .size:           2
        .value_kind:     hidden_group_size_z
      - .offset:         3170
        .size:           2
        .value_kind:     hidden_remainder_x
      - .offset:         3172
        .size:           2
        .value_kind:     hidden_remainder_y
      - .offset:         3174
        .size:           2
        .value_kind:     hidden_remainder_z
      - .offset:         3192
        .size:           8
        .value_kind:     hidden_global_offset_x
      - .offset:         3200
        .size:           8
        .value_kind:     hidden_global_offset_y
      - .offset:         3208
        .size:           8
        .value_kind:     hidden_global_offset_z
      - .offset:         3216
        .size:           2
        .value_kind:     hidden_grid_dims
    .group_segment_fixed_size: 0
    .kernarg_segment_align: 8
    .kernarg_segment_size: 3408
    .language:       OpenCL C
    .language_version:
      - 2
      - 0
    .max_flat_workgroup_size: 512
    .name:           _ZN2at6native12_GLOBAL__N_125multi_tensor_apply_kernelINS1_18TensorListMetadataILi3EEENS1_22TernaryOpScalarFunctorIN3c104HalfELi3ELi2ELi2EEEJNS0_11LerpFunctorIfEEfEEEvT_T0_DpT1_
    .private_segment_fixed_size: 0
    .sgpr_count:     23
    .sgpr_spill_count: 0
    .symbol:         _ZN2at6native12_GLOBAL__N_125multi_tensor_apply_kernelINS1_18TensorListMetadataILi3EEENS1_22TernaryOpScalarFunctorIN3c104HalfELi3ELi2ELi2EEEJNS0_11LerpFunctorIfEEfEEEvT_T0_DpT1_.kd
    .uniform_work_group_size: 1
    .uses_dynamic_stack: false
    .vgpr_count:     48
    .vgpr_spill_count: 0
    .wavefront_size: 32
  - .args:
      - .offset:         0
        .size:           3144
        .value_kind:     by_value
      - .offset:         3144
        .size:           1
        .value_kind:     by_value
      - .offset:         3145
        .size:           1
        .value_kind:     by_value
      - .offset:         3148
        .size:           4
        .value_kind:     by_value
      - .offset:         3152
        .size:           4
        .value_kind:     hidden_block_count_x
      - .offset:         3156
        .size:           4
        .value_kind:     hidden_block_count_y
      - .offset:         3160
        .size:           4
        .value_kind:     hidden_block_count_z
      - .offset:         3164
        .size:           2
        .value_kind:     hidden_group_size_x
      - .offset:         3166
        .size:           2
        .value_kind:     hidden_group_size_y
      - .offset:         3168
        .size:           2
        .value_kind:     hidden_group_size_z
      - .offset:         3170
        .size:           2
        .value_kind:     hidden_remainder_x
      - .offset:         3172
        .size:           2
        .value_kind:     hidden_remainder_y
      - .offset:         3174
        .size:           2
        .value_kind:     hidden_remainder_z
      - .offset:         3192
        .size:           8
        .value_kind:     hidden_global_offset_x
      - .offset:         3200
        .size:           8
        .value_kind:     hidden_global_offset_y
      - .offset:         3208
        .size:           8
        .value_kind:     hidden_global_offset_z
      - .offset:         3216
        .size:           2
        .value_kind:     hidden_grid_dims
    .group_segment_fixed_size: 0
    .kernarg_segment_align: 8
    .kernarg_segment_size: 3408
    .language:       OpenCL C
    .language_version:
      - 2
      - 0
    .max_flat_workgroup_size: 512
    .name:           _ZN2at6native12_GLOBAL__N_125multi_tensor_apply_kernelINS1_18TensorListMetadataILi3EEENS1_22TernaryOpScalarFunctorIN3c108BFloat16ELi3ELi2ELi2EEEJNS0_11LerpFunctorIfEEfEEEvT_T0_DpT1_
    .private_segment_fixed_size: 0
    .sgpr_count:     24
    .sgpr_spill_count: 0
    .symbol:         _ZN2at6native12_GLOBAL__N_125multi_tensor_apply_kernelINS1_18TensorListMetadataILi3EEENS1_22TernaryOpScalarFunctorIN3c108BFloat16ELi3ELi2ELi2EEEJNS0_11LerpFunctorIfEEfEEEvT_T0_DpT1_.kd
    .uniform_work_group_size: 1
    .uses_dynamic_stack: false
    .vgpr_count:     47
    .vgpr_spill_count: 0
    .wavefront_size: 32
  - .args:
      - .offset:         0
        .size:           3144
        .value_kind:     by_value
      - .offset:         3144
        .size:           1
        .value_kind:     by_value
      - .offset:         3145
        .size:           1
        .value_kind:     by_value
      - .offset:         3152
        .size:           8
        .value_kind:     by_value
      - .offset:         3160
        .size:           4
        .value_kind:     hidden_block_count_x
      - .offset:         3164
        .size:           4
        .value_kind:     hidden_block_count_y
      - .offset:         3168
        .size:           4
        .value_kind:     hidden_block_count_z
      - .offset:         3172
        .size:           2
        .value_kind:     hidden_group_size_x
      - .offset:         3174
        .size:           2
        .value_kind:     hidden_group_size_y
      - .offset:         3176
        .size:           2
        .value_kind:     hidden_group_size_z
      - .offset:         3178
        .size:           2
        .value_kind:     hidden_remainder_x
      - .offset:         3180
        .size:           2
        .value_kind:     hidden_remainder_y
      - .offset:         3182
        .size:           2
        .value_kind:     hidden_remainder_z
      - .offset:         3200
        .size:           8
        .value_kind:     hidden_global_offset_x
      - .offset:         3208
        .size:           8
        .value_kind:     hidden_global_offset_y
      - .offset:         3216
        .size:           8
        .value_kind:     hidden_global_offset_z
      - .offset:         3224
        .size:           2
        .value_kind:     hidden_grid_dims
    .group_segment_fixed_size: 0
    .kernarg_segment_align: 8
    .kernarg_segment_size: 3416
    .language:       OpenCL C
    .language_version:
      - 2
      - 0
    .max_flat_workgroup_size: 512
    .name:           _ZN2at6native12_GLOBAL__N_125multi_tensor_apply_kernelINS1_18TensorListMetadataILi2EEENS1_22TernaryOpScalarFunctorIdLi2ELi2ELi0EEEJNS0_11LerpFunctorIdEEdEEEvT_T0_DpT1_
    .private_segment_fixed_size: 0
    .sgpr_count:     24
    .sgpr_spill_count: 0
    .symbol:         _ZN2at6native12_GLOBAL__N_125multi_tensor_apply_kernelINS1_18TensorListMetadataILi2EEENS1_22TernaryOpScalarFunctorIdLi2ELi2ELi0EEEJNS0_11LerpFunctorIdEEdEEEvT_T0_DpT1_.kd
    .uniform_work_group_size: 1
    .uses_dynamic_stack: false
    .vgpr_count:     50
    .vgpr_spill_count: 0
    .wavefront_size: 32
  - .args:
      - .offset:         0
        .size:           3144
        .value_kind:     by_value
      - .offset:         3144
        .size:           1
        .value_kind:     by_value
      - .offset:         3145
        .size:           1
        .value_kind:     by_value
      - .offset:         3148
        .size:           4
        .value_kind:     by_value
      - .offset:         3152
        .size:           4
        .value_kind:     hidden_block_count_x
      - .offset:         3156
        .size:           4
        .value_kind:     hidden_block_count_y
      - .offset:         3160
        .size:           4
        .value_kind:     hidden_block_count_z
      - .offset:         3164
        .size:           2
        .value_kind:     hidden_group_size_x
      - .offset:         3166
        .size:           2
        .value_kind:     hidden_group_size_y
      - .offset:         3168
        .size:           2
        .value_kind:     hidden_group_size_z
      - .offset:         3170
        .size:           2
        .value_kind:     hidden_remainder_x
      - .offset:         3172
        .size:           2
        .value_kind:     hidden_remainder_y
      - .offset:         3174
        .size:           2
        .value_kind:     hidden_remainder_z
      - .offset:         3192
        .size:           8
        .value_kind:     hidden_global_offset_x
      - .offset:         3200
        .size:           8
        .value_kind:     hidden_global_offset_y
      - .offset:         3208
        .size:           8
        .value_kind:     hidden_global_offset_z
      - .offset:         3216
        .size:           2
        .value_kind:     hidden_grid_dims
    .group_segment_fixed_size: 0
    .kernarg_segment_align: 8
    .kernarg_segment_size: 3408
    .language:       OpenCL C
    .language_version:
      - 2
      - 0
    .max_flat_workgroup_size: 512
    .name:           _ZN2at6native12_GLOBAL__N_125multi_tensor_apply_kernelINS1_18TensorListMetadataILi2EEENS1_22TernaryOpScalarFunctorIfLi2ELi2ELi0EEEJNS0_11LerpFunctorIfEEfEEEvT_T0_DpT1_
    .private_segment_fixed_size: 0
    .sgpr_count:     24
    .sgpr_spill_count: 0
    .symbol:         _ZN2at6native12_GLOBAL__N_125multi_tensor_apply_kernelINS1_18TensorListMetadataILi2EEENS1_22TernaryOpScalarFunctorIfLi2ELi2ELi0EEEJNS0_11LerpFunctorIfEEfEEEvT_T0_DpT1_.kd
    .uniform_work_group_size: 1
    .uses_dynamic_stack: false
    .vgpr_count:     40
    .vgpr_spill_count: 0
    .wavefront_size: 32
  - .args:
      - .offset:         0
        .size:           3144
        .value_kind:     by_value
      - .offset:         3144
        .size:           1
        .value_kind:     by_value
      - .offset:         3145
        .size:           1
        .value_kind:     by_value
      - .offset:         3152
        .size:           16
        .value_kind:     by_value
      - .offset:         3168
        .size:           4
        .value_kind:     hidden_block_count_x
      - .offset:         3172
        .size:           4
        .value_kind:     hidden_block_count_y
      - .offset:         3176
        .size:           4
        .value_kind:     hidden_block_count_z
      - .offset:         3180
        .size:           2
        .value_kind:     hidden_group_size_x
      - .offset:         3182
        .size:           2
        .value_kind:     hidden_group_size_y
      - .offset:         3184
        .size:           2
        .value_kind:     hidden_group_size_z
      - .offset:         3186
        .size:           2
        .value_kind:     hidden_remainder_x
      - .offset:         3188
        .size:           2
        .value_kind:     hidden_remainder_y
      - .offset:         3190
        .size:           2
        .value_kind:     hidden_remainder_z
      - .offset:         3208
        .size:           8
        .value_kind:     hidden_global_offset_x
      - .offset:         3216
        .size:           8
        .value_kind:     hidden_global_offset_y
      - .offset:         3224
        .size:           8
        .value_kind:     hidden_global_offset_z
      - .offset:         3232
        .size:           2
        .value_kind:     hidden_grid_dims
    .group_segment_fixed_size: 0
    .kernarg_segment_align: 16
    .kernarg_segment_size: 3424
    .language:       OpenCL C
    .language_version:
      - 2
      - 0
    .max_flat_workgroup_size: 512
    .name:           _ZN2at6native12_GLOBAL__N_125multi_tensor_apply_kernelINS1_18TensorListMetadataILi2EEENS1_22TernaryOpScalarFunctorIN3c107complexIdEELi2ELi2ELi0EEEJNS0_11LerpFunctorIS8_EES8_EEEvT_T0_DpT1_
    .private_segment_fixed_size: 0
    .sgpr_count:     26
    .sgpr_spill_count: 0
    .symbol:         _ZN2at6native12_GLOBAL__N_125multi_tensor_apply_kernelINS1_18TensorListMetadataILi2EEENS1_22TernaryOpScalarFunctorIN3c107complexIdEELi2ELi2ELi0EEEJNS0_11LerpFunctorIS8_EES8_EEEvT_T0_DpT1_.kd
    .uniform_work_group_size: 1
    .uses_dynamic_stack: false
    .vgpr_count:     58
    .vgpr_spill_count: 0
    .wavefront_size: 32
  - .args:
      - .offset:         0
        .size:           3144
        .value_kind:     by_value
      - .offset:         3144
        .size:           1
        .value_kind:     by_value
      - .offset:         3145
        .size:           1
        .value_kind:     by_value
      - .offset:         3152
        .size:           8
        .value_kind:     by_value
      - .offset:         3160
        .size:           4
        .value_kind:     hidden_block_count_x
      - .offset:         3164
        .size:           4
        .value_kind:     hidden_block_count_y
      - .offset:         3168
        .size:           4
        .value_kind:     hidden_block_count_z
      - .offset:         3172
        .size:           2
        .value_kind:     hidden_group_size_x
      - .offset:         3174
        .size:           2
        .value_kind:     hidden_group_size_y
      - .offset:         3176
        .size:           2
        .value_kind:     hidden_group_size_z
      - .offset:         3178
        .size:           2
        .value_kind:     hidden_remainder_x
      - .offset:         3180
        .size:           2
        .value_kind:     hidden_remainder_y
      - .offset:         3182
        .size:           2
        .value_kind:     hidden_remainder_z
      - .offset:         3200
        .size:           8
        .value_kind:     hidden_global_offset_x
      - .offset:         3208
        .size:           8
        .value_kind:     hidden_global_offset_y
      - .offset:         3216
        .size:           8
        .value_kind:     hidden_global_offset_z
      - .offset:         3224
        .size:           2
        .value_kind:     hidden_grid_dims
    .group_segment_fixed_size: 0
    .kernarg_segment_align: 8
    .kernarg_segment_size: 3416
    .language:       OpenCL C
    .language_version:
      - 2
      - 0
    .max_flat_workgroup_size: 512
    .name:           _ZN2at6native12_GLOBAL__N_125multi_tensor_apply_kernelINS1_18TensorListMetadataILi2EEENS1_22TernaryOpScalarFunctorIN3c107complexIfEELi2ELi2ELi0EEEJNS0_11LerpFunctorIS8_EES8_EEEvT_T0_DpT1_
    .private_segment_fixed_size: 0
    .sgpr_count:     28
    .sgpr_spill_count: 0
    .symbol:         _ZN2at6native12_GLOBAL__N_125multi_tensor_apply_kernelINS1_18TensorListMetadataILi2EEENS1_22TernaryOpScalarFunctorIN3c107complexIfEELi2ELi2ELi0EEEJNS0_11LerpFunctorIS8_EES8_EEEvT_T0_DpT1_.kd
    .uniform_work_group_size: 1
    .uses_dynamic_stack: false
    .vgpr_count:     52
    .vgpr_spill_count: 0
    .wavefront_size: 32
  - .args:
      - .offset:         0
        .size:           3144
        .value_kind:     by_value
      - .offset:         3144
        .size:           1
        .value_kind:     by_value
      - .offset:         3145
        .size:           1
        .value_kind:     by_value
      - .offset:         3148
        .size:           4
        .value_kind:     by_value
      - .offset:         3152
        .size:           4
        .value_kind:     hidden_block_count_x
      - .offset:         3156
        .size:           4
        .value_kind:     hidden_block_count_y
      - .offset:         3160
        .size:           4
        .value_kind:     hidden_block_count_z
      - .offset:         3164
        .size:           2
        .value_kind:     hidden_group_size_x
      - .offset:         3166
        .size:           2
        .value_kind:     hidden_group_size_y
      - .offset:         3168
        .size:           2
        .value_kind:     hidden_group_size_z
      - .offset:         3170
        .size:           2
        .value_kind:     hidden_remainder_x
      - .offset:         3172
        .size:           2
        .value_kind:     hidden_remainder_y
      - .offset:         3174
        .size:           2
        .value_kind:     hidden_remainder_z
      - .offset:         3192
        .size:           8
        .value_kind:     hidden_global_offset_x
      - .offset:         3200
        .size:           8
        .value_kind:     hidden_global_offset_y
      - .offset:         3208
        .size:           8
        .value_kind:     hidden_global_offset_z
      - .offset:         3216
        .size:           2
        .value_kind:     hidden_grid_dims
    .group_segment_fixed_size: 0
    .kernarg_segment_align: 8
    .kernarg_segment_size: 3408
    .language:       OpenCL C
    .language_version:
      - 2
      - 0
    .max_flat_workgroup_size: 512
    .name:           _ZN2at6native12_GLOBAL__N_125multi_tensor_apply_kernelINS1_18TensorListMetadataILi2EEENS1_22TernaryOpScalarFunctorIN3c104HalfELi2ELi2ELi0EEEJNS0_11LerpFunctorIfEEfEEEvT_T0_DpT1_
    .private_segment_fixed_size: 0
    .sgpr_count:     24
    .sgpr_spill_count: 0
    .symbol:         _ZN2at6native12_GLOBAL__N_125multi_tensor_apply_kernelINS1_18TensorListMetadataILi2EEENS1_22TernaryOpScalarFunctorIN3c104HalfELi2ELi2ELi0EEEJNS0_11LerpFunctorIfEEfEEEvT_T0_DpT1_.kd
    .uniform_work_group_size: 1
    .uses_dynamic_stack: false
    .vgpr_count:     40
    .vgpr_spill_count: 0
    .wavefront_size: 32
  - .args:
      - .offset:         0
        .size:           3144
        .value_kind:     by_value
      - .offset:         3144
        .size:           1
        .value_kind:     by_value
      - .offset:         3145
        .size:           1
        .value_kind:     by_value
      - .offset:         3148
        .size:           4
        .value_kind:     by_value
      - .offset:         3152
        .size:           4
        .value_kind:     hidden_block_count_x
      - .offset:         3156
        .size:           4
        .value_kind:     hidden_block_count_y
      - .offset:         3160
        .size:           4
        .value_kind:     hidden_block_count_z
      - .offset:         3164
        .size:           2
        .value_kind:     hidden_group_size_x
      - .offset:         3166
        .size:           2
        .value_kind:     hidden_group_size_y
      - .offset:         3168
        .size:           2
        .value_kind:     hidden_group_size_z
      - .offset:         3170
        .size:           2
        .value_kind:     hidden_remainder_x
      - .offset:         3172
        .size:           2
        .value_kind:     hidden_remainder_y
      - .offset:         3174
        .size:           2
        .value_kind:     hidden_remainder_z
      - .offset:         3192
        .size:           8
        .value_kind:     hidden_global_offset_x
      - .offset:         3200
        .size:           8
        .value_kind:     hidden_global_offset_y
      - .offset:         3208
        .size:           8
        .value_kind:     hidden_global_offset_z
      - .offset:         3216
        .size:           2
        .value_kind:     hidden_grid_dims
    .group_segment_fixed_size: 0
    .kernarg_segment_align: 8
    .kernarg_segment_size: 3408
    .language:       OpenCL C
    .language_version:
      - 2
      - 0
    .max_flat_workgroup_size: 512
    .name:           _ZN2at6native12_GLOBAL__N_125multi_tensor_apply_kernelINS1_18TensorListMetadataILi2EEENS1_22TernaryOpScalarFunctorIN3c108BFloat16ELi2ELi2ELi0EEEJNS0_11LerpFunctorIfEEfEEEvT_T0_DpT1_
    .private_segment_fixed_size: 0
    .sgpr_count:     24
    .sgpr_spill_count: 0
    .symbol:         _ZN2at6native12_GLOBAL__N_125multi_tensor_apply_kernelINS1_18TensorListMetadataILi2EEENS1_22TernaryOpScalarFunctorIN3c108BFloat16ELi2ELi2ELi0EEEJNS0_11LerpFunctorIfEEfEEEvT_T0_DpT1_.kd
    .uniform_work_group_size: 1
    .uses_dynamic_stack: false
    .vgpr_count:     39
    .vgpr_spill_count: 0
    .wavefront_size: 32
  - .args:
      - .offset:         0
        .size:           3520
        .value_kind:     by_value
      - .offset:         3520
        .size:           1
        .value_kind:     by_value
      - .offset:         3521
        .size:           1
        .value_kind:     by_value
      - .offset:         3528
        .size:           4
        .value_kind:     hidden_block_count_x
      - .offset:         3532
        .size:           4
        .value_kind:     hidden_block_count_y
      - .offset:         3536
        .size:           4
        .value_kind:     hidden_block_count_z
      - .offset:         3540
        .size:           2
        .value_kind:     hidden_group_size_x
      - .offset:         3542
        .size:           2
        .value_kind:     hidden_group_size_y
      - .offset:         3544
        .size:           2
        .value_kind:     hidden_group_size_z
      - .offset:         3546
        .size:           2
        .value_kind:     hidden_remainder_x
      - .offset:         3548
        .size:           2
        .value_kind:     hidden_remainder_y
      - .offset:         3550
        .size:           2
        .value_kind:     hidden_remainder_z
      - .offset:         3568
        .size:           8
        .value_kind:     hidden_global_offset_x
      - .offset:         3576
        .size:           8
        .value_kind:     hidden_global_offset_y
      - .offset:         3584
        .size:           8
        .value_kind:     hidden_global_offset_z
      - .offset:         3592
        .size:           2
        .value_kind:     hidden_grid_dims
    .group_segment_fixed_size: 0
    .kernarg_segment_align: 8
    .kernarg_segment_size: 3784
    .language:       OpenCL C
    .language_version:
      - 2
      - 0
    .max_flat_workgroup_size: 512
    .name:           _ZN2at6native12_GLOBAL__N_125multi_tensor_apply_kernelINS1_28TensorListScalarListMetadataIdLi3EEENS1_26TernaryOpScalarListFunctorIdLi3ELi2ELi2EEEJNS0_11LerpFunctorIdEEEEEvT_T0_DpT1_
    .private_segment_fixed_size: 0
    .sgpr_count:     30
    .sgpr_spill_count: 0
    .symbol:         _ZN2at6native12_GLOBAL__N_125multi_tensor_apply_kernelINS1_28TensorListScalarListMetadataIdLi3EEENS1_26TernaryOpScalarListFunctorIdLi3ELi2ELi2EEEJNS0_11LerpFunctorIdEEEEEvT_T0_DpT1_.kd
    .uniform_work_group_size: 1
    .uses_dynamic_stack: false
    .vgpr_count:     58
    .vgpr_spill_count: 0
    .wavefront_size: 32
  - .args:
      - .offset:         0
        .size:           3328
        .value_kind:     by_value
      - .offset:         3328
        .size:           1
        .value_kind:     by_value
      - .offset:         3329
        .size:           1
        .value_kind:     by_value
      - .offset:         3336
        .size:           4
        .value_kind:     hidden_block_count_x
      - .offset:         3340
        .size:           4
        .value_kind:     hidden_block_count_y
      - .offset:         3344
        .size:           4
        .value_kind:     hidden_block_count_z
      - .offset:         3348
        .size:           2
        .value_kind:     hidden_group_size_x
      - .offset:         3350
        .size:           2
        .value_kind:     hidden_group_size_y
      - .offset:         3352
        .size:           2
        .value_kind:     hidden_group_size_z
      - .offset:         3354
        .size:           2
        .value_kind:     hidden_remainder_x
      - .offset:         3356
        .size:           2
        .value_kind:     hidden_remainder_y
      - .offset:         3358
        .size:           2
        .value_kind:     hidden_remainder_z
      - .offset:         3376
        .size:           8
        .value_kind:     hidden_global_offset_x
      - .offset:         3384
        .size:           8
        .value_kind:     hidden_global_offset_y
      - .offset:         3392
        .size:           8
        .value_kind:     hidden_global_offset_z
      - .offset:         3400
        .size:           2
        .value_kind:     hidden_grid_dims
    .group_segment_fixed_size: 0
    .kernarg_segment_align: 8
    .kernarg_segment_size: 3592
    .language:       OpenCL C
    .language_version:
      - 2
      - 0
    .max_flat_workgroup_size: 512
    .name:           _ZN2at6native12_GLOBAL__N_125multi_tensor_apply_kernelINS1_28TensorListScalarListMetadataIfLi3EEENS1_26TernaryOpScalarListFunctorIfLi3ELi2ELi2EEEJNS0_11LerpFunctorIfEEEEEvT_T0_DpT1_
    .private_segment_fixed_size: 0
    .sgpr_count:     26
    .sgpr_spill_count: 0
    .symbol:         _ZN2at6native12_GLOBAL__N_125multi_tensor_apply_kernelINS1_28TensorListScalarListMetadataIfLi3EEENS1_26TernaryOpScalarListFunctorIfLi3ELi2ELi2EEEJNS0_11LerpFunctorIfEEEEEvT_T0_DpT1_.kd
    .uniform_work_group_size: 1
    .uses_dynamic_stack: false
    .vgpr_count:     48
    .vgpr_spill_count: 0
    .wavefront_size: 32
  - .args:
      - .offset:         0
        .size:           3904
        .value_kind:     by_value
      - .offset:         3904
        .size:           1
        .value_kind:     by_value
      - .offset:         3905
        .size:           1
        .value_kind:     by_value
      - .offset:         3912
        .size:           4
        .value_kind:     hidden_block_count_x
      - .offset:         3916
        .size:           4
        .value_kind:     hidden_block_count_y
      - .offset:         3920
        .size:           4
        .value_kind:     hidden_block_count_z
      - .offset:         3924
        .size:           2
        .value_kind:     hidden_group_size_x
      - .offset:         3926
        .size:           2
        .value_kind:     hidden_group_size_y
      - .offset:         3928
        .size:           2
        .value_kind:     hidden_group_size_z
      - .offset:         3930
        .size:           2
        .value_kind:     hidden_remainder_x
      - .offset:         3932
        .size:           2
        .value_kind:     hidden_remainder_y
      - .offset:         3934
        .size:           2
        .value_kind:     hidden_remainder_z
      - .offset:         3952
        .size:           8
        .value_kind:     hidden_global_offset_x
      - .offset:         3960
        .size:           8
        .value_kind:     hidden_global_offset_y
      - .offset:         3968
        .size:           8
        .value_kind:     hidden_global_offset_z
      - .offset:         3976
        .size:           2
        .value_kind:     hidden_grid_dims
    .group_segment_fixed_size: 0
    .kernarg_segment_align: 16
    .kernarg_segment_size: 4168
    .language:       OpenCL C
    .language_version:
      - 2
      - 0
    .max_flat_workgroup_size: 512
    .name:           _ZN2at6native12_GLOBAL__N_125multi_tensor_apply_kernelINS1_28TensorListScalarListMetadataIN3c107complexIdEELi3EEENS1_26TernaryOpScalarListFunctorIS6_Li3ELi2ELi2EEEJNS0_11LerpFunctorIS6_EEEEEvT_T0_DpT1_
    .private_segment_fixed_size: 0
    .sgpr_count:     30
    .sgpr_spill_count: 0
    .symbol:         _ZN2at6native12_GLOBAL__N_125multi_tensor_apply_kernelINS1_28TensorListScalarListMetadataIN3c107complexIdEELi3EEENS1_26TernaryOpScalarListFunctorIS6_Li3ELi2ELi2EEEJNS0_11LerpFunctorIS6_EEEEEvT_T0_DpT1_.kd
    .uniform_work_group_size: 1
    .uses_dynamic_stack: false
    .vgpr_count:     58
    .vgpr_spill_count: 0
    .wavefront_size: 32
  - .args:
      - .offset:         0
        .size:           3520
        .value_kind:     by_value
      - .offset:         3520
        .size:           1
        .value_kind:     by_value
      - .offset:         3521
        .size:           1
        .value_kind:     by_value
      - .offset:         3528
        .size:           4
        .value_kind:     hidden_block_count_x
      - .offset:         3532
        .size:           4
        .value_kind:     hidden_block_count_y
      - .offset:         3536
        .size:           4
        .value_kind:     hidden_block_count_z
      - .offset:         3540
        .size:           2
        .value_kind:     hidden_group_size_x
      - .offset:         3542
        .size:           2
        .value_kind:     hidden_group_size_y
      - .offset:         3544
        .size:           2
        .value_kind:     hidden_group_size_z
      - .offset:         3546
        .size:           2
        .value_kind:     hidden_remainder_x
      - .offset:         3548
        .size:           2
        .value_kind:     hidden_remainder_y
      - .offset:         3550
        .size:           2
        .value_kind:     hidden_remainder_z
      - .offset:         3568
        .size:           8
        .value_kind:     hidden_global_offset_x
      - .offset:         3576
        .size:           8
        .value_kind:     hidden_global_offset_y
      - .offset:         3584
        .size:           8
        .value_kind:     hidden_global_offset_z
      - .offset:         3592
        .size:           2
        .value_kind:     hidden_grid_dims
    .group_segment_fixed_size: 0
    .kernarg_segment_align: 8
    .kernarg_segment_size: 3784
    .language:       OpenCL C
    .language_version:
      - 2
      - 0
    .max_flat_workgroup_size: 512
    .name:           _ZN2at6native12_GLOBAL__N_125multi_tensor_apply_kernelINS1_28TensorListScalarListMetadataIN3c107complexIfEELi3EEENS1_26TernaryOpScalarListFunctorIS6_Li3ELi2ELi2EEEJNS0_11LerpFunctorIS6_EEEEEvT_T0_DpT1_
    .private_segment_fixed_size: 0
    .sgpr_count:     32
    .sgpr_spill_count: 0
    .symbol:         _ZN2at6native12_GLOBAL__N_125multi_tensor_apply_kernelINS1_28TensorListScalarListMetadataIN3c107complexIfEELi3EEENS1_26TernaryOpScalarListFunctorIS6_Li3ELi2ELi2EEEJNS0_11LerpFunctorIS6_EEEEEvT_T0_DpT1_.kd
    .uniform_work_group_size: 1
    .uses_dynamic_stack: false
    .vgpr_count:     60
    .vgpr_spill_count: 0
    .wavefront_size: 32
  - .args:
      - .offset:         0
        .size:           3328
        .value_kind:     by_value
      - .offset:         3328
        .size:           1
        .value_kind:     by_value
      - .offset:         3329
        .size:           1
        .value_kind:     by_value
      - .offset:         3336
        .size:           4
        .value_kind:     hidden_block_count_x
      - .offset:         3340
        .size:           4
        .value_kind:     hidden_block_count_y
      - .offset:         3344
        .size:           4
        .value_kind:     hidden_block_count_z
      - .offset:         3348
        .size:           2
        .value_kind:     hidden_group_size_x
      - .offset:         3350
        .size:           2
        .value_kind:     hidden_group_size_y
      - .offset:         3352
        .size:           2
        .value_kind:     hidden_group_size_z
      - .offset:         3354
        .size:           2
        .value_kind:     hidden_remainder_x
      - .offset:         3356
        .size:           2
        .value_kind:     hidden_remainder_y
      - .offset:         3358
        .size:           2
        .value_kind:     hidden_remainder_z
      - .offset:         3376
        .size:           8
        .value_kind:     hidden_global_offset_x
      - .offset:         3384
        .size:           8
        .value_kind:     hidden_global_offset_y
      - .offset:         3392
        .size:           8
        .value_kind:     hidden_global_offset_z
      - .offset:         3400
        .size:           2
        .value_kind:     hidden_grid_dims
    .group_segment_fixed_size: 0
    .kernarg_segment_align: 8
    .kernarg_segment_size: 3592
    .language:       OpenCL C
    .language_version:
      - 2
      - 0
    .max_flat_workgroup_size: 512
    .name:           _ZN2at6native12_GLOBAL__N_125multi_tensor_apply_kernelINS1_28TensorListScalarListMetadataIfLi3EEENS1_26TernaryOpScalarListFunctorIN3c104HalfELi3ELi2ELi2EEEJNS0_11LerpFunctorIfEEEEEvT_T0_DpT1_
    .private_segment_fixed_size: 0
    .sgpr_count:     25
    .sgpr_spill_count: 0
    .symbol:         _ZN2at6native12_GLOBAL__N_125multi_tensor_apply_kernelINS1_28TensorListScalarListMetadataIfLi3EEENS1_26TernaryOpScalarListFunctorIN3c104HalfELi3ELi2ELi2EEEJNS0_11LerpFunctorIfEEEEEvT_T0_DpT1_.kd
    .uniform_work_group_size: 1
    .uses_dynamic_stack: false
    .vgpr_count:     48
    .vgpr_spill_count: 0
    .wavefront_size: 32
  - .args:
      - .offset:         0
        .size:           3328
        .value_kind:     by_value
      - .offset:         3328
        .size:           1
        .value_kind:     by_value
      - .offset:         3329
        .size:           1
        .value_kind:     by_value
      - .offset:         3336
        .size:           4
        .value_kind:     hidden_block_count_x
      - .offset:         3340
        .size:           4
        .value_kind:     hidden_block_count_y
      - .offset:         3344
        .size:           4
        .value_kind:     hidden_block_count_z
      - .offset:         3348
        .size:           2
        .value_kind:     hidden_group_size_x
      - .offset:         3350
        .size:           2
        .value_kind:     hidden_group_size_y
      - .offset:         3352
        .size:           2
        .value_kind:     hidden_group_size_z
      - .offset:         3354
        .size:           2
        .value_kind:     hidden_remainder_x
      - .offset:         3356
        .size:           2
        .value_kind:     hidden_remainder_y
      - .offset:         3358
        .size:           2
        .value_kind:     hidden_remainder_z
      - .offset:         3376
        .size:           8
        .value_kind:     hidden_global_offset_x
      - .offset:         3384
        .size:           8
        .value_kind:     hidden_global_offset_y
      - .offset:         3392
        .size:           8
        .value_kind:     hidden_global_offset_z
      - .offset:         3400
        .size:           2
        .value_kind:     hidden_grid_dims
    .group_segment_fixed_size: 0
    .kernarg_segment_align: 8
    .kernarg_segment_size: 3592
    .language:       OpenCL C
    .language_version:
      - 2
      - 0
    .max_flat_workgroup_size: 512
    .name:           _ZN2at6native12_GLOBAL__N_125multi_tensor_apply_kernelINS1_28TensorListScalarListMetadataIfLi3EEENS1_26TernaryOpScalarListFunctorIN3c108BFloat16ELi3ELi2ELi2EEEJNS0_11LerpFunctorIfEEEEEvT_T0_DpT1_
    .private_segment_fixed_size: 0
    .sgpr_count:     25
    .sgpr_spill_count: 0
    .symbol:         _ZN2at6native12_GLOBAL__N_125multi_tensor_apply_kernelINS1_28TensorListScalarListMetadataIfLi3EEENS1_26TernaryOpScalarListFunctorIN3c108BFloat16ELi3ELi2ELi2EEEJNS0_11LerpFunctorIfEEEEEvT_T0_DpT1_.kd
    .uniform_work_group_size: 1
    .uses_dynamic_stack: false
    .vgpr_count:     47
    .vgpr_spill_count: 0
    .wavefront_size: 32
  - .args:
      - .offset:         0
        .size:           3648
        .value_kind:     by_value
      - .offset:         3648
        .size:           1
        .value_kind:     by_value
      - .offset:         3649
        .size:           1
        .value_kind:     by_value
      - .offset:         3656
        .size:           4
        .value_kind:     hidden_block_count_x
      - .offset:         3660
        .size:           4
        .value_kind:     hidden_block_count_y
      - .offset:         3664
        .size:           4
        .value_kind:     hidden_block_count_z
      - .offset:         3668
        .size:           2
        .value_kind:     hidden_group_size_x
      - .offset:         3670
        .size:           2
        .value_kind:     hidden_group_size_y
      - .offset:         3672
        .size:           2
        .value_kind:     hidden_group_size_z
      - .offset:         3674
        .size:           2
        .value_kind:     hidden_remainder_x
      - .offset:         3676
        .size:           2
        .value_kind:     hidden_remainder_y
      - .offset:         3678
        .size:           2
        .value_kind:     hidden_remainder_z
      - .offset:         3696
        .size:           8
        .value_kind:     hidden_global_offset_x
      - .offset:         3704
        .size:           8
        .value_kind:     hidden_global_offset_y
      - .offset:         3712
        .size:           8
        .value_kind:     hidden_global_offset_z
      - .offset:         3720
        .size:           2
        .value_kind:     hidden_grid_dims
    .group_segment_fixed_size: 0
    .kernarg_segment_align: 8
    .kernarg_segment_size: 3912
    .language:       OpenCL C
    .language_version:
      - 2
      - 0
    .max_flat_workgroup_size: 512
    .name:           _ZN2at6native12_GLOBAL__N_125multi_tensor_apply_kernelINS1_28TensorListScalarListMetadataIdLi2EEENS1_26TernaryOpScalarListFunctorIdLi2ELi2ELi0EEEJNS0_11LerpFunctorIdEEEEEvT_T0_DpT1_
    .private_segment_fixed_size: 0
    .sgpr_count:     24
    .sgpr_spill_count: 0
    .symbol:         _ZN2at6native12_GLOBAL__N_125multi_tensor_apply_kernelINS1_28TensorListScalarListMetadataIdLi2EEENS1_26TernaryOpScalarListFunctorIdLi2ELi2ELi0EEEJNS0_11LerpFunctorIdEEEEEvT_T0_DpT1_.kd
    .uniform_work_group_size: 1
    .uses_dynamic_stack: false
    .vgpr_count:     50
    .vgpr_spill_count: 0
    .wavefront_size: 32
  - .args:
      - .offset:         0
        .size:           3392
        .value_kind:     by_value
      - .offset:         3392
        .size:           1
        .value_kind:     by_value
      - .offset:         3393
        .size:           1
        .value_kind:     by_value
      - .offset:         3400
        .size:           4
        .value_kind:     hidden_block_count_x
      - .offset:         3404
        .size:           4
        .value_kind:     hidden_block_count_y
      - .offset:         3408
        .size:           4
        .value_kind:     hidden_block_count_z
      - .offset:         3412
        .size:           2
        .value_kind:     hidden_group_size_x
      - .offset:         3414
        .size:           2
        .value_kind:     hidden_group_size_y
      - .offset:         3416
        .size:           2
        .value_kind:     hidden_group_size_z
      - .offset:         3418
        .size:           2
        .value_kind:     hidden_remainder_x
      - .offset:         3420
        .size:           2
        .value_kind:     hidden_remainder_y
      - .offset:         3422
        .size:           2
        .value_kind:     hidden_remainder_z
      - .offset:         3440
        .size:           8
        .value_kind:     hidden_global_offset_x
      - .offset:         3448
        .size:           8
        .value_kind:     hidden_global_offset_y
      - .offset:         3456
        .size:           8
        .value_kind:     hidden_global_offset_z
      - .offset:         3464
        .size:           2
        .value_kind:     hidden_grid_dims
    .group_segment_fixed_size: 0
    .kernarg_segment_align: 8
    .kernarg_segment_size: 3656
    .language:       OpenCL C
    .language_version:
      - 2
      - 0
    .max_flat_workgroup_size: 512
    .name:           _ZN2at6native12_GLOBAL__N_125multi_tensor_apply_kernelINS1_28TensorListScalarListMetadataIfLi2EEENS1_26TernaryOpScalarListFunctorIfLi2ELi2ELi0EEEJNS0_11LerpFunctorIfEEEEEvT_T0_DpT1_
    .private_segment_fixed_size: 0
    .sgpr_count:     22
    .sgpr_spill_count: 0
    .symbol:         _ZN2at6native12_GLOBAL__N_125multi_tensor_apply_kernelINS1_28TensorListScalarListMetadataIfLi2EEENS1_26TernaryOpScalarListFunctorIfLi2ELi2ELi0EEEJNS0_11LerpFunctorIfEEEEEvT_T0_DpT1_.kd
    .uniform_work_group_size: 1
    .uses_dynamic_stack: false
    .vgpr_count:     40
    .vgpr_spill_count: 0
    .wavefront_size: 32
  - .args:
      - .offset:         0
        .size:           4000
        .value_kind:     by_value
      - .offset:         4000
        .size:           1
        .value_kind:     by_value
      - .offset:         4001
        .size:           1
        .value_kind:     by_value
      - .offset:         4008
        .size:           4
        .value_kind:     hidden_block_count_x
      - .offset:         4012
        .size:           4
        .value_kind:     hidden_block_count_y
      - .offset:         4016
        .size:           4
        .value_kind:     hidden_block_count_z
      - .offset:         4020
        .size:           2
        .value_kind:     hidden_group_size_x
      - .offset:         4022
        .size:           2
        .value_kind:     hidden_group_size_y
      - .offset:         4024
        .size:           2
        .value_kind:     hidden_group_size_z
      - .offset:         4026
        .size:           2
        .value_kind:     hidden_remainder_x
      - .offset:         4028
        .size:           2
        .value_kind:     hidden_remainder_y
      - .offset:         4030
        .size:           2
        .value_kind:     hidden_remainder_z
      - .offset:         4048
        .size:           8
        .value_kind:     hidden_global_offset_x
      - .offset:         4056
        .size:           8
        .value_kind:     hidden_global_offset_y
      - .offset:         4064
        .size:           8
        .value_kind:     hidden_global_offset_z
      - .offset:         4072
        .size:           2
        .value_kind:     hidden_grid_dims
    .group_segment_fixed_size: 0
    .kernarg_segment_align: 16
    .kernarg_segment_size: 4264
    .language:       OpenCL C
    .language_version:
      - 2
      - 0
    .max_flat_workgroup_size: 512
    .name:           _ZN2at6native12_GLOBAL__N_125multi_tensor_apply_kernelINS1_28TensorListScalarListMetadataIN3c107complexIdEELi2EEENS1_26TernaryOpScalarListFunctorIS6_Li2ELi2ELi0EEEJNS0_11LerpFunctorIS6_EEEEEvT_T0_DpT1_
    .private_segment_fixed_size: 0
    .sgpr_count:     26
    .sgpr_spill_count: 0
    .symbol:         _ZN2at6native12_GLOBAL__N_125multi_tensor_apply_kernelINS1_28TensorListScalarListMetadataIN3c107complexIdEELi2EEENS1_26TernaryOpScalarListFunctorIS6_Li2ELi2ELi0EEEJNS0_11LerpFunctorIS6_EEEEEvT_T0_DpT1_.kd
    .uniform_work_group_size: 1
    .uses_dynamic_stack: false
    .vgpr_count:     58
    .vgpr_spill_count: 0
    .wavefront_size: 32
  - .args:
      - .offset:         0
        .size:           3648
        .value_kind:     by_value
      - .offset:         3648
        .size:           1
        .value_kind:     by_value
      - .offset:         3649
        .size:           1
        .value_kind:     by_value
      - .offset:         3656
        .size:           4
        .value_kind:     hidden_block_count_x
      - .offset:         3660
        .size:           4
        .value_kind:     hidden_block_count_y
      - .offset:         3664
        .size:           4
        .value_kind:     hidden_block_count_z
      - .offset:         3668
        .size:           2
        .value_kind:     hidden_group_size_x
      - .offset:         3670
        .size:           2
        .value_kind:     hidden_group_size_y
      - .offset:         3672
        .size:           2
        .value_kind:     hidden_group_size_z
      - .offset:         3674
        .size:           2
        .value_kind:     hidden_remainder_x
      - .offset:         3676
        .size:           2
        .value_kind:     hidden_remainder_y
      - .offset:         3678
        .size:           2
        .value_kind:     hidden_remainder_z
      - .offset:         3696
        .size:           8
        .value_kind:     hidden_global_offset_x
      - .offset:         3704
        .size:           8
        .value_kind:     hidden_global_offset_y
      - .offset:         3712
        .size:           8
        .value_kind:     hidden_global_offset_z
      - .offset:         3720
        .size:           2
        .value_kind:     hidden_grid_dims
    .group_segment_fixed_size: 0
    .kernarg_segment_align: 8
    .kernarg_segment_size: 3912
    .language:       OpenCL C
    .language_version:
      - 2
      - 0
    .max_flat_workgroup_size: 512
    .name:           _ZN2at6native12_GLOBAL__N_125multi_tensor_apply_kernelINS1_28TensorListScalarListMetadataIN3c107complexIfEELi2EEENS1_26TernaryOpScalarListFunctorIS6_Li2ELi2ELi0EEEJNS0_11LerpFunctorIS6_EEEEEvT_T0_DpT1_
    .private_segment_fixed_size: 0
    .sgpr_count:     28
    .sgpr_spill_count: 0
    .symbol:         _ZN2at6native12_GLOBAL__N_125multi_tensor_apply_kernelINS1_28TensorListScalarListMetadataIN3c107complexIfEELi2EEENS1_26TernaryOpScalarListFunctorIS6_Li2ELi2ELi0EEEJNS0_11LerpFunctorIS6_EEEEEvT_T0_DpT1_.kd
    .uniform_work_group_size: 1
    .uses_dynamic_stack: false
    .vgpr_count:     52
    .vgpr_spill_count: 0
    .wavefront_size: 32
  - .args:
      - .offset:         0
        .size:           3392
        .value_kind:     by_value
      - .offset:         3392
        .size:           1
        .value_kind:     by_value
      - .offset:         3393
        .size:           1
        .value_kind:     by_value
      - .offset:         3400
        .size:           4
        .value_kind:     hidden_block_count_x
      - .offset:         3404
        .size:           4
        .value_kind:     hidden_block_count_y
      - .offset:         3408
        .size:           4
        .value_kind:     hidden_block_count_z
      - .offset:         3412
        .size:           2
        .value_kind:     hidden_group_size_x
      - .offset:         3414
        .size:           2
        .value_kind:     hidden_group_size_y
      - .offset:         3416
        .size:           2
        .value_kind:     hidden_group_size_z
      - .offset:         3418
        .size:           2
        .value_kind:     hidden_remainder_x
      - .offset:         3420
        .size:           2
        .value_kind:     hidden_remainder_y
      - .offset:         3422
        .size:           2
        .value_kind:     hidden_remainder_z
      - .offset:         3440
        .size:           8
        .value_kind:     hidden_global_offset_x
      - .offset:         3448
        .size:           8
        .value_kind:     hidden_global_offset_y
      - .offset:         3456
        .size:           8
        .value_kind:     hidden_global_offset_z
      - .offset:         3464
        .size:           2
        .value_kind:     hidden_grid_dims
    .group_segment_fixed_size: 0
    .kernarg_segment_align: 8
    .kernarg_segment_size: 3656
    .language:       OpenCL C
    .language_version:
      - 2
      - 0
    .max_flat_workgroup_size: 512
    .name:           _ZN2at6native12_GLOBAL__N_125multi_tensor_apply_kernelINS1_28TensorListScalarListMetadataIfLi2EEENS1_26TernaryOpScalarListFunctorIN3c104HalfELi2ELi2ELi0EEEJNS0_11LerpFunctorIfEEEEEvT_T0_DpT1_
    .private_segment_fixed_size: 0
    .sgpr_count:     22
    .sgpr_spill_count: 0
    .symbol:         _ZN2at6native12_GLOBAL__N_125multi_tensor_apply_kernelINS1_28TensorListScalarListMetadataIfLi2EEENS1_26TernaryOpScalarListFunctorIN3c104HalfELi2ELi2ELi0EEEJNS0_11LerpFunctorIfEEEEEvT_T0_DpT1_.kd
    .uniform_work_group_size: 1
    .uses_dynamic_stack: false
    .vgpr_count:     40
    .vgpr_spill_count: 0
    .wavefront_size: 32
  - .args:
      - .offset:         0
        .size:           3392
        .value_kind:     by_value
      - .offset:         3392
        .size:           1
        .value_kind:     by_value
      - .offset:         3393
        .size:           1
        .value_kind:     by_value
      - .offset:         3400
        .size:           4
        .value_kind:     hidden_block_count_x
      - .offset:         3404
        .size:           4
        .value_kind:     hidden_block_count_y
      - .offset:         3408
        .size:           4
        .value_kind:     hidden_block_count_z
      - .offset:         3412
        .size:           2
        .value_kind:     hidden_group_size_x
      - .offset:         3414
        .size:           2
        .value_kind:     hidden_group_size_y
      - .offset:         3416
        .size:           2
        .value_kind:     hidden_group_size_z
      - .offset:         3418
        .size:           2
        .value_kind:     hidden_remainder_x
      - .offset:         3420
        .size:           2
        .value_kind:     hidden_remainder_y
      - .offset:         3422
        .size:           2
        .value_kind:     hidden_remainder_z
      - .offset:         3440
        .size:           8
        .value_kind:     hidden_global_offset_x
      - .offset:         3448
        .size:           8
        .value_kind:     hidden_global_offset_y
      - .offset:         3456
        .size:           8
        .value_kind:     hidden_global_offset_z
      - .offset:         3464
        .size:           2
        .value_kind:     hidden_grid_dims
    .group_segment_fixed_size: 0
    .kernarg_segment_align: 8
    .kernarg_segment_size: 3656
    .language:       OpenCL C
    .language_version:
      - 2
      - 0
    .max_flat_workgroup_size: 512
    .name:           _ZN2at6native12_GLOBAL__N_125multi_tensor_apply_kernelINS1_28TensorListScalarListMetadataIfLi2EEENS1_26TernaryOpScalarListFunctorIN3c108BFloat16ELi2ELi2ELi0EEEJNS0_11LerpFunctorIfEEEEEvT_T0_DpT1_
    .private_segment_fixed_size: 0
    .sgpr_count:     22
    .sgpr_spill_count: 0
    .symbol:         _ZN2at6native12_GLOBAL__N_125multi_tensor_apply_kernelINS1_28TensorListScalarListMetadataIfLi2EEENS1_26TernaryOpScalarListFunctorIN3c108BFloat16ELi2ELi2ELi0EEEJNS0_11LerpFunctorIfEEEEEvT_T0_DpT1_.kd
    .uniform_work_group_size: 1
    .uses_dynamic_stack: false
    .vgpr_count:     39
    .vgpr_spill_count: 0
    .wavefront_size: 32
amdhsa.target:   amdgcn-amd-amdhsa--gfx1250
amdhsa.version:
  - 1
  - 2
...

	.end_amdgpu_metadata
